;; amdgpu-corpus repo=ROCm/rocFFT kind=compiled arch=gfx950 opt=O3
	.text
	.amdgcn_target "amdgcn-amd-amdhsa--gfx950"
	.amdhsa_code_object_version 6
	.protected	bluestein_single_back_len220_dim1_sp_op_CI_CI ; -- Begin function bluestein_single_back_len220_dim1_sp_op_CI_CI
	.globl	bluestein_single_back_len220_dim1_sp_op_CI_CI
	.p2align	8
	.type	bluestein_single_back_len220_dim1_sp_op_CI_CI,@function
bluestein_single_back_len220_dim1_sp_op_CI_CI: ; @bluestein_single_back_len220_dim1_sp_op_CI_CI
; %bb.0:
	s_load_dwordx4 s[16:19], s[0:1], 0x28
	v_mul_u32_u24_e32 v1, 0xba3, v0
	v_lshrrev_b32_e32 v2, 16, v1
	v_mad_u64_u32 v[46:47], s[2:3], s2, 5, v[2:3]
	v_mov_b32_e32 v63, 0
	v_mov_b32_e32 v47, v63
	s_waitcnt lgkmcnt(0)
	v_cmp_gt_u64_e32 vcc, s[16:17], v[46:47]
	s_and_saveexec_b64 s[2:3], vcc
	s_cbranch_execz .LBB0_10
; %bb.1:
	s_load_dwordx4 s[4:7], s[0:1], 0x18
	s_load_dwordx4 s[8:11], s[0:1], 0x0
	v_mul_lo_u16_e32 v1, 22, v2
	v_sub_u16_e32 v47, v0, v1
	v_mov_b32_e32 v4, s18
	s_waitcnt lgkmcnt(0)
	s_load_dwordx4 s[12:15], s[4:5], 0x0
	v_mov_b32_e32 v5, s19
	v_mov_b32_e32 v20, 0xb0
	v_lshlrev_b32_e32 v62, 3, v47
	s_mov_b32 s16, 0xbf737871
	s_waitcnt lgkmcnt(0)
	v_mad_u64_u32 v[0:1], s[2:3], s14, v46, 0
	v_mov_b32_e32 v2, v1
	v_mad_u64_u32 v[2:3], s[2:3], s15, v46, v[2:3]
	v_mov_b32_e32 v1, v2
	;; [unrolled: 2-line block ×4, first 2 shown]
	v_lshl_add_u64 v[0:1], v[0:1], 3, v[4:5]
	v_lshl_add_u64 v[0:1], v[2:3], 3, v[0:1]
	global_load_dwordx2 v[2:3], v[0:1], off
	v_mad_u64_u32 v[0:1], s[2:3], s12, v20, v[0:1]
	s_mul_i32 s4, s13, 0xb0
	v_add_u32_e32 v1, s4, v1
	global_load_dwordx2 v[4:5], v[0:1], off
	global_load_dwordx2 v[60:61], v62, s[8:9]
	v_mad_u64_u32 v[0:1], s[2:3], s12, v20, v[0:1]
	v_add_u32_e32 v1, s4, v1
	v_mad_u64_u32 v[6:7], s[2:3], s12, v20, v[0:1]
	v_add_u32_e32 v7, s4, v7
	global_load_dwordx2 v[58:59], v62, s[8:9] offset:176
	global_load_dwordx2 v[56:57], v62, s[8:9] offset:352
	;; [unrolled: 1-line block ×3, first 2 shown]
	global_load_dwordx2 v[8:9], v[0:1], off
	v_mad_u64_u32 v[0:1], s[2:3], s12, v20, v[6:7]
	v_add_u32_e32 v1, s4, v1
	global_load_dwordx2 v[10:11], v[6:7], off
	global_load_dwordx2 v[12:13], v[0:1], off
	v_mad_u64_u32 v[0:1], s[2:3], s12, v20, v[0:1]
	v_add_u32_e32 v1, s4, v1
	global_load_dwordx2 v[54:55], v62, s[8:9] offset:704
	global_load_dwordx2 v[6:7], v[0:1], off
	v_mad_u64_u32 v[0:1], s[2:3], s12, v20, v[0:1]
	v_add_u32_e32 v1, s4, v1
	global_load_dwordx2 v[14:15], v[0:1], off
	v_mad_u64_u32 v[0:1], s[2:3], s12, v20, v[0:1]
	global_load_dwordx2 v[52:53], v62, s[8:9] offset:880
	global_load_dwordx2 v[48:49], v62, s[8:9] offset:1056
	v_add_u32_e32 v1, s4, v1
	global_load_dwordx2 v[16:17], v[0:1], off
	global_load_dwordx2 v[44:45], v62, s[8:9] offset:1232
	v_mad_u64_u32 v[0:1], s[2:3], s12, v20, v[0:1]
	v_add_u32_e32 v1, s4, v1
	global_load_dwordx2 v[18:19], v[0:1], off
	global_load_dwordx2 v[42:43], v62, s[8:9] offset:1408
	v_mad_u64_u32 v[0:1], s[2:3], s12, v20, v[0:1]
	v_add_u32_e32 v1, s4, v1
	global_load_dwordx2 v[40:41], v62, s[8:9] offset:1584
	global_load_dwordx2 v[20:21], v[0:1], off
	s_mov_b32 s2, 0xcccccccd
	v_mul_hi_u32 v0, v46, s2
	v_lshrrev_b32_e32 v0, 2, v0
	v_lshl_add_u32 v0, v0, 2, v0
	v_sub_u32_e32 v0, v46, v0
	v_mul_u32_u24_e32 v0, 0xdc, v0
	v_lshlrev_b32_e32 v131, 3, v0
	v_add_u32_e32 v130, v62, v131
	s_load_dwordx4 s[4:7], s[6:7], 0x0
	s_mov_b32 s2, 0x3f737871
	s_mov_b32 s12, 0x3f167918
	;; [unrolled: 1-line block ×4, first 2 shown]
	s_load_dwordx2 s[0:1], s[0:1], 0x38
	v_cmp_gt_u16_e32 vcc, 20, v47
	s_waitcnt vmcnt(17)
	v_mul_f32_e32 v0, v3, v61
	v_mul_f32_e32 v1, v2, v61
	v_fmac_f32_e32 v0, v2, v60
	v_fma_f32 v1, v3, v60, -v1
	s_waitcnt vmcnt(16)
	v_mul_f32_e32 v2, v5, v59
	v_mul_f32_e32 v3, v4, v59
	v_fmac_f32_e32 v2, v4, v58
	v_fma_f32 v3, v5, v58, -v3
	ds_write2_b64 v130, v[0:1], v[2:3] offset1:22
	s_waitcnt vmcnt(13)
	v_mul_f32_e32 v0, v9, v57
	v_mul_f32_e32 v1, v8, v57
	s_waitcnt vmcnt(12)
	v_mul_f32_e32 v2, v11, v51
	v_mul_f32_e32 v3, v10, v51
	v_fmac_f32_e32 v0, v8, v56
	v_fma_f32 v1, v9, v56, -v1
	v_fmac_f32_e32 v2, v10, v50
	v_fma_f32 v3, v11, v50, -v3
	ds_write2_b64 v130, v[0:1], v[2:3] offset0:44 offset1:66
	s_waitcnt vmcnt(10)
	v_mul_f32_e32 v0, v13, v55
	v_mul_f32_e32 v1, v12, v55
	s_waitcnt vmcnt(7)
	v_mul_f32_e32 v2, v7, v53
	v_mul_f32_e32 v3, v6, v53
	v_fmac_f32_e32 v0, v12, v54
	v_fma_f32 v1, v13, v54, -v1
	v_fmac_f32_e32 v2, v6, v52
	v_fma_f32 v3, v7, v52, -v3
	ds_write2_b64 v130, v[0:1], v[2:3] offset0:88 offset1:110
	;; [unrolled: 11-line block ×4, first 2 shown]
	s_waitcnt lgkmcnt(0)
	s_barrier
	ds_read2_b64 v[0:3], v130 offset1:22
	ds_read2_b64 v[4:7], v130 offset0:44 offset1:66
	ds_read2_b64 v[8:11], v130 offset0:176 offset1:198
	ds_read2_b64 v[12:15], v130 offset0:88 offset1:110
	ds_read2_b64 v[16:19], v130 offset0:132 offset1:154
	s_waitcnt lgkmcnt(0)
	v_pk_add_f32 v[20:21], v[0:1], v[4:5]
	v_pk_add_f32 v[22:23], v[2:3], v[6:7]
	;; [unrolled: 1-line block ×4, first 2 shown]
	v_pk_add_f32 v[24:25], v[4:5], v[8:9] neg_lo:[0,1] neg_hi:[0,1]
	v_pk_add_f32 v[26:27], v[4:5], v[12:13] neg_lo:[0,1] neg_hi:[0,1]
	v_pk_add_f32 v[36:37], v[12:13], v[16:17]
	v_pk_add_f32 v[20:21], v[20:21], v[16:17]
	v_pk_add_f32 v[22:23], v[22:23], v[18:19]
	v_pk_add_f32 v[64:65], v[8:9], v[16:17] neg_lo:[0,1] neg_hi:[0,1]
	v_pk_add_f32 v[28:29], v[4:5], v[8:9]
	v_pk_add_f32 v[4:5], v[12:13], v[4:5] neg_lo:[0,1] neg_hi:[0,1]
	v_pk_add_f32 v[30:31], v[6:7], v[10:11] neg_lo:[0,1] neg_hi:[0,1]
	v_pk_add_f32 v[32:33], v[6:7], v[10:11]
	v_pk_add_f32 v[34:35], v[14:15], v[6:7] neg_lo:[0,1] neg_hi:[0,1]
	v_pk_add_f32 v[6:7], v[6:7], v[14:15] neg_lo:[0,1] neg_hi:[0,1]
	v_pk_add_f32 v[12:13], v[12:13], v[16:17] neg_lo:[0,1] neg_hi:[0,1]
	v_pk_add_f32 v[38:39], v[14:15], v[18:19] neg_lo:[0,1] neg_hi:[0,1]
	v_pk_add_f32 v[14:15], v[14:15], v[18:19]
	v_pk_add_f32 v[16:17], v[16:17], v[8:9] neg_lo:[0,1] neg_hi:[0,1]
	v_pk_add_f32 v[66:67], v[18:19], v[10:11] neg_lo:[0,1] neg_hi:[0,1]
	;; [unrolled: 1-line block ×3, first 2 shown]
	v_pk_add_f32 v[8:9], v[20:21], v[8:9]
	v_pk_add_f32 v[10:11], v[22:23], v[10:11]
	v_pk_add_f32 v[20:21], v[26:27], v[64:65]
	v_pk_fma_f32 v[22:23], v[36:37], 0.5, v[0:1] op_sel_hi:[1,0,1] neg_lo:[1,0,0] neg_hi:[1,0,0]
	v_pk_mul_f32 v[26:27], v[24:25], s[2:3] op_sel_hi:[1,0]
	v_pk_add_f32 v[4:5], v[4:5], v[16:17]
	v_pk_add_f32 v[36:37], v[22:23], v[26:27] op_sel:[0,1] op_sel_hi:[1,0]
	v_pk_add_f32 v[22:23], v[22:23], v[26:27] op_sel:[0,1] op_sel_hi:[1,0] neg_lo:[0,1] neg_hi:[0,1]
	v_pk_mul_f32 v[26:27], v[12:13], s[12:13] op_sel_hi:[1,0]
	v_pk_add_f32 v[16:17], v[34:35], v[66:67]
	v_pk_fma_f32 v[32:33], v[32:33], 0.5, v[2:3] op_sel_hi:[1,0,1] neg_lo:[1,0,0] neg_hi:[1,0,0]
	v_pk_mul_f32 v[34:35], v[38:39], s[2:3] op_sel_hi:[1,0]
	v_pk_add_f32 v[22:23], v[22:23], v[26:27] op_sel:[0,1] op_sel_hi:[1,0] neg_lo:[0,1] neg_hi:[0,1]
	v_pk_add_f32 v[26:27], v[36:37], v[26:27] op_sel:[0,1] op_sel_hi:[1,0]
	v_pk_add_f32 v[36:37], v[32:33], v[34:35] op_sel:[0,1] op_sel_hi:[1,0] neg_lo:[0,1] neg_hi:[0,1]
	v_pk_add_f32 v[32:33], v[32:33], v[34:35] op_sel:[0,1] op_sel_hi:[1,0]
	v_pk_mul_f32 v[34:35], v[30:31], s[12:13] op_sel_hi:[1,0]
	v_pk_fma_f32 v[0:1], v[28:29], 0.5, v[0:1] op_sel_hi:[1,0,1] neg_lo:[1,0,0] neg_hi:[1,0,0]
	v_pk_add_f32 v[32:33], v[32:33], v[34:35] op_sel:[0,1] op_sel_hi:[1,0] neg_lo:[0,1] neg_hi:[0,1]
	v_pk_add_f32 v[34:35], v[36:37], v[34:35] op_sel:[0,1] op_sel_hi:[1,0]
	v_mov_b32_e32 v37, v33
	v_mov_b32_e32 v36, v34
	v_pk_mul_f32 v[12:13], v[12:13], s[2:3] op_sel_hi:[1,0]
	v_mov_b32_e32 v33, v35
	v_pk_fma_f32 v[36:37], v[16:17], s[14:15], v[36:37] op_sel_hi:[1,0,1]
	v_pk_add_f32 v[28:29], v[0:1], v[12:13] op_sel:[0,1] op_sel_hi:[1,0] neg_lo:[0,1] neg_hi:[0,1]
	v_pk_add_f32 v[0:1], v[0:1], v[12:13] op_sel:[0,1] op_sel_hi:[1,0]
	v_pk_mul_f32 v[12:13], v[24:25], s[12:13] op_sel_hi:[1,0]
	v_pk_fma_f32 v[16:17], v[16:17], s[14:15], v[32:33] op_sel_hi:[1,0,1]
	v_pk_add_f32 v[0:1], v[0:1], v[12:13] op_sel:[0,1] op_sel_hi:[1,0] neg_lo:[0,1] neg_hi:[0,1]
	v_pk_add_f32 v[12:13], v[28:29], v[12:13] op_sel:[0,1] op_sel_hi:[1,0]
	v_pk_mul_f32 v[24:25], v[16:17], s[14:15] op_sel_hi:[1,0]
	v_pk_fma_f32 v[2:3], v[14:15], 0.5, v[2:3] op_sel_hi:[1,0,1] neg_lo:[1,0,0] neg_hi:[1,0,0]
	v_pk_fma_f32 v[16:17], v[16:17], s[16:17], v[24:25] op_sel:[0,0,1] op_sel_hi:[1,1,0] neg_lo:[0,0,1] neg_hi:[0,0,1]
	v_mov_b32_e32 v24, v12
	v_mov_b32_e32 v25, v1
	;; [unrolled: 1-line block ×3, first 2 shown]
	v_pk_fma_f32 v[12:13], v[4:5], s[14:15], v[24:25] op_sel_hi:[1,0,1]
	v_pk_fma_f32 v[24:25], v[4:5], s[14:15], v[0:1] op_sel_hi:[1,0,1]
	v_mov_b32_e32 v4, v26
	v_mov_b32_e32 v5, v23
	v_pk_add_f32 v[14:15], v[6:7], v[18:19]
	v_pk_fma_f32 v[18:19], v[20:21], s[14:15], v[4:5] op_sel_hi:[1,0,1]
	v_mov_b32_e32 v23, v27
	v_pk_mul_f32 v[4:5], v[30:31], s[2:3] op_sel_hi:[1,0]
	v_pk_fma_f32 v[20:21], v[20:21], s[14:15], v[22:23] op_sel_hi:[1,0,1]
	v_pk_add_f32 v[22:23], v[2:3], v[4:5] op_sel:[0,1] op_sel_hi:[1,0]
	v_pk_add_f32 v[2:3], v[2:3], v[4:5] op_sel:[0,1] op_sel_hi:[1,0] neg_lo:[0,1] neg_hi:[0,1]
	v_pk_mul_f32 v[26:27], v[38:39], s[12:13] op_sel_hi:[1,0]
	v_pk_mul_f32 v[64:65], v[36:37], s[2:3] op_sel_hi:[1,0]
	v_pk_add_f32 v[22:23], v[26:27], v[22:23] op_sel:[1,0] op_sel_hi:[0,1]
	v_pk_add_f32 v[2:3], v[2:3], v[26:27] op_sel:[0,1] op_sel_hi:[1,0] neg_lo:[0,1] neg_hi:[0,1]
	v_pk_fma_f32 v[66:67], v[36:37], s[14:15], v[64:65] op_sel:[0,0,1] op_sel_hi:[1,0,0]
	v_pk_fma_f32 v[26:27], v[14:15], s[14:15], v[2:3] op_sel_hi:[1,0,1]
	v_mov_b32_e32 v3, v23
	v_pk_fma_f32 v[36:37], v[36:37], s[14:15], v[64:65] op_sel:[0,0,1] op_sel_hi:[1,0,0] neg_lo:[0,0,1] neg_hi:[0,0,1]
	v_pk_fma_f32 v[22:23], v[14:15], s[14:15], v[22:23] op_sel_hi:[1,0,1]
	v_pk_fma_f32 v[2:3], v[14:15], s[14:15], v[2:3] op_sel_hi:[1,0,1]
	s_mov_b32 s14, 0x3f4f1bbd
	s_mov_b32 s2, 0xbf167918
	;; [unrolled: 1-line block ×3, first 2 shown]
	v_pk_mul_f32 v[14:15], v[2:3], s[14:15] op_sel_hi:[1,0]
	s_mov_b32 s15, s12
	v_pk_fma_f32 v[14:15], v[2:3], s[2:3], v[14:15] op_sel:[0,0,1] op_sel_hi:[1,1,0] neg_lo:[0,0,1] neg_hi:[0,0,1]
	v_pk_mul_f32 v[2:3], v[22:23], s[14:15] op_sel_hi:[0,1]
	s_mov_b32 s13, s14
	v_pk_fma_f32 v[22:23], v[26:27], s[12:13], v[2:3] op_sel:[1,0,0]
	v_pk_fma_f32 v[2:3], v[26:27], s[12:13], v[2:3] op_sel:[1,0,0] neg_lo:[0,0,1] neg_hi:[0,0,1]
	v_mul_lo_u16_e32 v0, 10, v47
	v_mov_b32_e32 v23, v3
	v_mov_b32_e32 v67, v37
	v_lshl_add_u32 v132, v0, 3, v131
	v_pk_add_f32 v[0:1], v[8:9], v[10:11]
	v_pk_add_f32 v[2:3], v[18:19], v[22:23]
	v_pk_add_f32 v[26:27], v[20:21], v[14:15] op_sel:[1,0] op_sel_hi:[0,1]
	s_barrier
	v_pk_add_f32 v[4:5], v[12:13], v[66:67]
	v_pk_add_f32 v[6:7], v[24:25], v[16:17] op_sel:[0,1] op_sel_hi:[1,0]
	ds_write_b128 v132, v[0:3]
	ds_write_b128 v132, v[4:7] offset:16
	v_pk_add_f32 v[2:3], v[8:9], v[10:11] neg_lo:[0,1] neg_hi:[0,1]
	v_mov_b32_e32 v0, v27
	v_mov_b32_e32 v1, v26
	ds_write_b128 v132, v[0:3] offset:32
	v_pk_add_f32 v[0:1], v[18:19], v[22:23] neg_lo:[0,1] neg_hi:[0,1]
	v_pk_add_f32 v[2:3], v[12:13], v[66:67] neg_lo:[0,1] neg_hi:[0,1]
	v_pk_add_f32 v[4:5], v[20:21], v[14:15] op_sel:[1,0] op_sel_hi:[0,1] neg_lo:[0,1] neg_hi:[0,1]
	ds_write_b128 v132, v[0:3] offset:48
	v_pk_add_f32 v[0:1], v[24:25], v[16:17] op_sel:[0,1] op_sel_hi:[1,0] neg_lo:[0,1] neg_hi:[0,1]
	v_mov_b32_e32 v2, v5
	v_mov_b32_e32 v3, v4
	s_movk_i32 s2, 0xcd
	ds_write_b128 v132, v[0:3] offset:64
	v_mul_lo_u16_sdwa v0, v47, s2 dst_sel:DWORD dst_unused:UNUSED_PAD src0_sel:BYTE_0 src1_sel:DWORD
	v_lshrrev_b16_e32 v16, 11, v0
	v_mul_lo_u16_e32 v0, 10, v16
	v_add_u16_e32 v2, 22, v47
	v_sub_u16_e32 v17, v47, v0
	v_mov_b32_e32 v0, 3
	v_mul_lo_u16_sdwa v3, v2, s2 dst_sel:DWORD dst_unused:UNUSED_PAD src0_sel:BYTE_0 src1_sel:DWORD
	v_lshlrev_b32_sdwa v1, v0, v17 dst_sel:DWORD dst_unused:UNUSED_PAD src0_sel:DWORD src1_sel:BYTE_0
	v_lshrrev_b16_e32 v18, 11, v3
	s_waitcnt lgkmcnt(0)
	s_barrier
	global_load_dwordx2 v[70:71], v1, s[10:11]
	v_mul_lo_u16_e32 v1, 10, v18
	v_sub_u16_e32 v19, v2, v1
	v_lshlrev_b32_sdwa v1, v0, v19 dst_sel:DWORD dst_unused:UNUSED_PAD src0_sel:DWORD src1_sel:BYTE_0
	global_load_dwordx2 v[66:67], v1, s[10:11]
	v_add_u16_e32 v1, 44, v47
	v_mul_lo_u16_sdwa v2, v1, s2 dst_sel:DWORD dst_unused:UNUSED_PAD src0_sel:BYTE_0 src1_sel:DWORD
	v_lshrrev_b16_e32 v74, 11, v2
	v_mul_lo_u16_e32 v2, 10, v74
	v_sub_u16_e32 v75, v1, v2
	v_lshlrev_b32_sdwa v1, v0, v75 dst_sel:DWORD dst_unused:UNUSED_PAD src0_sel:DWORD src1_sel:BYTE_0
	v_add_u16_e32 v2, 0x42, v47
	global_load_dwordx2 v[68:69], v1, s[10:11]
	v_mul_lo_u16_sdwa v1, v2, s2 dst_sel:DWORD dst_unused:UNUSED_PAD src0_sel:BYTE_0 src1_sel:DWORD
	v_lshrrev_b16_e32 v76, 11, v1
	v_mul_lo_u16_e32 v1, 10, v76
	v_sub_u16_e32 v77, v2, v1
	v_lshlrev_b32_sdwa v1, v0, v77 dst_sel:DWORD dst_unused:UNUSED_PAD src0_sel:DWORD src1_sel:BYTE_0
	global_load_dwordx2 v[64:65], v1, s[10:11]
	v_add_u16_e32 v1, 0x58, v47
	v_mul_lo_u16_sdwa v2, v1, s2 dst_sel:DWORD dst_unused:UNUSED_PAD src0_sel:BYTE_0 src1_sel:DWORD
	v_lshrrev_b16_e32 v78, 11, v2
	v_mul_lo_u16_e32 v2, 10, v78
	v_sub_u16_e32 v79, v1, v2
	v_lshlrev_b32_sdwa v0, v0, v79 dst_sel:DWORD dst_unused:UNUSED_PAD src0_sel:DWORD src1_sel:BYTE_0
	global_load_dwordx2 v[72:73], v0, s[10:11]
	ds_read2_b64 v[0:3], v130 offset0:88 offset1:110
	ds_read2_b64 v[4:7], v130 offset0:132 offset1:154
	s_waitcnt vmcnt(4) lgkmcnt(1)
	v_pk_mul_f32 v[8:9], v[2:3], v[70:71] op_sel:[0,1]
	s_nop 0
	v_pk_fma_f32 v[12:13], v[2:3], v[70:71], v[8:9] op_sel:[0,0,1] op_sel_hi:[1,1,0] neg_lo:[0,0,1] neg_hi:[0,0,1]
	v_pk_fma_f32 v[2:3], v[2:3], v[70:71], v[8:9] op_sel:[0,0,1] op_sel_hi:[1,0,0]
	ds_read2_b64 v[8:11], v130 offset1:22
	v_mov_b32_e32 v13, v3
	s_waitcnt vmcnt(3) lgkmcnt(1)
	v_pk_mul_f32 v[2:3], v[4:5], v[66:67] op_sel:[0,1]
	s_waitcnt lgkmcnt(0)
	v_pk_add_f32 v[22:23], v[8:9], v[12:13] neg_lo:[0,1] neg_hi:[0,1]
	v_pk_fma_f32 v[14:15], v[4:5], v[66:67], v[2:3] op_sel:[0,0,1] op_sel_hi:[1,1,0] neg_lo:[0,0,1] neg_hi:[0,0,1]
	v_pk_fma_f32 v[2:3], v[4:5], v[66:67], v[2:3] op_sel:[0,0,1] op_sel_hi:[1,0,0]
	v_pk_fma_f32 v[20:21], v[8:9], 2.0, v[22:23] op_sel_hi:[1,0,1] neg_lo:[0,0,1] neg_hi:[0,0,1]
	v_mov_b32_e32 v15, v3
	v_pk_add_f32 v[26:27], v[10:11], v[14:15] neg_lo:[0,1] neg_hi:[0,1]
	s_waitcnt vmcnt(2)
	v_pk_mul_f32 v[8:9], v[6:7], v[68:69] op_sel:[0,1]
	ds_read2_b64 v[2:5], v130 offset0:176 offset1:198
	v_pk_fma_f32 v[24:25], v[10:11], 2.0, v[26:27] op_sel_hi:[1,0,1] neg_lo:[0,0,1] neg_hi:[0,0,1]
	v_pk_fma_f32 v[10:11], v[6:7], v[68:69], v[8:9] op_sel:[0,0,1] op_sel_hi:[1,1,0] neg_lo:[0,0,1] neg_hi:[0,0,1]
	v_pk_fma_f32 v[6:7], v[6:7], v[68:69], v[8:9] op_sel:[0,0,1] op_sel_hi:[1,0,0]
	s_waitcnt vmcnt(1) lgkmcnt(0)
	v_pk_mul_f32 v[12:13], v[2:3], v[64:65] op_sel:[0,1]
	v_mov_b32_e32 v11, v7
	ds_read2_b64 v[6:9], v130 offset0:44 offset1:66
	v_pk_fma_f32 v[14:15], v[2:3], v[64:65], v[12:13] op_sel:[0,0,1] op_sel_hi:[1,1,0] neg_lo:[0,0,1] neg_hi:[0,0,1]
	v_pk_fma_f32 v[2:3], v[2:3], v[64:65], v[12:13] op_sel:[0,0,1] op_sel_hi:[1,0,0]
	s_waitcnt lgkmcnt(0)
	v_mov_b32_e32 v15, v3
	v_pk_add_f32 v[30:31], v[6:7], v[10:11] neg_lo:[0,1] neg_hi:[0,1]
	s_waitcnt vmcnt(0)
	v_pk_mul_f32 v[2:3], v[4:5], v[72:73] op_sel:[0,1]
	v_pk_fma_f32 v[28:29], v[6:7], 2.0, v[30:31] op_sel_hi:[1,0,1] neg_lo:[0,0,1] neg_hi:[0,0,1]
	v_pk_fma_f32 v[6:7], v[4:5], v[72:73], v[2:3] op_sel:[0,0,1] op_sel_hi:[1,1,0] neg_lo:[0,0,1] neg_hi:[0,0,1]
	v_pk_fma_f32 v[2:3], v[4:5], v[72:73], v[2:3] op_sel:[0,0,1] op_sel_hi:[1,0,0]
	v_mul_u32_u24_e32 v4, 20, v78
	v_mov_b32_e32 v7, v3
	v_pk_add_f32 v[38:39], v[0:1], v[6:7] neg_lo:[0,1] neg_hi:[0,1]
	v_mul_u32_u24_e32 v2, 20, v74
	v_pk_fma_f32 v[36:37], v[0:1], 2.0, v[38:39] op_sel_hi:[1,0,1] neg_lo:[0,0,1] neg_hi:[0,0,1]
	v_mad_legacy_u16 v0, v16, 20, v17
	v_mad_legacy_u16 v1, v18, 20, v19
	v_mul_u32_u24_e32 v3, 20, v76
	v_and_b32_e32 v0, 0xff, v0
	v_pk_add_f32 v[34:35], v[8:9], v[14:15] neg_lo:[0,1] neg_hi:[0,1]
	v_add_u32_sdwa v2, v2, v75 dst_sel:DWORD dst_unused:UNUSED_PAD src0_sel:DWORD src1_sel:BYTE_0
	v_add_u32_sdwa v3, v3, v77 dst_sel:DWORD dst_unused:UNUSED_PAD src0_sel:DWORD src1_sel:BYTE_0
	;; [unrolled: 1-line block ×3, first 2 shown]
	v_lshl_add_u32 v133, v0, 3, v131
	v_and_b32_e32 v0, 0xff, v1
	v_pk_fma_f32 v[32:33], v[8:9], 2.0, v[34:35] op_sel_hi:[1,0,1] neg_lo:[0,0,1] neg_hi:[0,0,1]
	v_lshl_add_u32 v134, v0, 3, v131
	v_lshl_add_u32 v135, v2, 3, v131
	;; [unrolled: 1-line block ×4, first 2 shown]
	s_barrier
	ds_write2_b64 v133, v[20:21], v[22:23] offset1:10
	ds_write2_b64 v134, v[24:25], v[26:27] offset1:10
	;; [unrolled: 1-line block ×5, first 2 shown]
	s_waitcnt lgkmcnt(0)
	s_barrier
	s_waitcnt lgkmcnt(0)
                                        ; implicit-def: $vgpr74
                                        ; implicit-def: $vgpr76
	s_and_saveexec_b64 s[2:3], vcc
	s_cbranch_execz .LBB0_3
; %bb.2:
	ds_read2_b64 v[20:23], v130 offset1:20
	ds_read2_b64 v[24:27], v130 offset0:40 offset1:60
	ds_read2_b64 v[28:31], v130 offset0:80 offset1:100
	;; [unrolled: 1-line block ×3, first 2 shown]
	ds_read_b64 v[74:75], v130 offset:1600
	ds_read2_b64 v[36:39], v130 offset0:160 offset1:180
	s_waitcnt lgkmcnt(1)
	v_mov_b32_e32 v76, v75
.LBB0_3:
	s_or_b64 exec, exec, s[2:3]
	v_subrev_u32_e32 v0, 20, v47
	v_cndmask_b32_e32 v0, v0, v47, vcc
	v_mul_hi_i32_i24_e32 v1, 0x50, v0
	v_mul_i32_i24_e32 v0, 0x50, v0
	v_lshl_add_u64 v[78:79], s[10:11], 0, v[0:1]
	global_load_dwordx4 v[0:3], v[78:79], off offset:80
	global_load_dwordx4 v[8:11], v[78:79], off offset:96
	;; [unrolled: 1-line block ×5, first 2 shown]
	s_mov_b32 s14, 0xbf0a6770
	s_mov_b32 s2, 0x3f575c64
	;; [unrolled: 1-line block ×10, first 2 shown]
	s_waitcnt vmcnt(4)
	v_pk_mul_f32 v[100:101], v[22:23], v[0:1] op_sel:[1,0]
	s_waitcnt vmcnt(3)
	v_pk_mul_f32 v[84:85], v[26:27], v[8:9] op_sel:[1,0]
	v_pk_mul_f32 v[86:87], v[28:29], v[10:11] op_sel:[1,0]
	s_waitcnt vmcnt(2)
	v_pk_mul_f32 v[88:89], v[30:31], v[4:5] op_sel:[1,0]
	;; [unrolled: 3-line block ×3, first 2 shown]
	s_waitcnt lgkmcnt(0)
	v_pk_mul_f32 v[94:95], v[36:37], v[14:15] op_sel:[1,0]
	s_waitcnt vmcnt(0)
	v_pk_mul_f32 v[96:97], v[38:39], v[16:17] op_sel:[1,0]
	v_pk_mul_f32 v[76:77], v[76:77], v[18:19] op_sel_hi:[0,1]
	v_pk_mul_f32 v[78:79], v[24:25], v[2:3] op_sel:[1,0]
	v_pk_fma_f32 v[82:83], v[26:27], v[8:9], v[84:85] op_sel:[0,0,1] op_sel_hi:[1,1,0] neg_lo:[0,0,1] neg_hi:[0,0,1]
	v_pk_fma_f32 v[26:27], v[26:27], v[8:9], v[84:85] op_sel:[0,0,1] op_sel_hi:[0,1,0]
	v_pk_fma_f32 v[84:85], v[28:29], v[10:11], v[86:87] op_sel:[0,0,1] op_sel_hi:[1,1,0] neg_lo:[0,0,1] neg_hi:[0,0,1]
	v_pk_fma_f32 v[28:29], v[28:29], v[10:11], v[86:87] op_sel:[0,0,1] op_sel_hi:[0,1,0]
	v_pk_fma_f32 v[86:87], v[30:31], v[4:5], v[88:89] op_sel:[0,0,1] op_sel_hi:[1,1,0] neg_lo:[0,0,1] neg_hi:[0,0,1]
	v_pk_fma_f32 v[30:31], v[30:31], v[4:5], v[88:89] op_sel:[0,0,1] op_sel_hi:[0,1,0]
	v_pk_fma_f32 v[88:89], v[32:33], v[6:7], v[90:91] op_sel:[0,0,1] op_sel_hi:[1,1,0] neg_lo:[0,0,1] neg_hi:[0,0,1]
	v_pk_fma_f32 v[32:33], v[32:33], v[6:7], v[90:91] op_sel:[0,0,1] op_sel_hi:[0,1,0]
	v_pk_fma_f32 v[90:91], v[34:35], v[12:13], v[92:93] op_sel:[0,0,1] op_sel_hi:[1,1,0] neg_lo:[0,0,1] neg_hi:[0,0,1]
	v_pk_fma_f32 v[34:35], v[34:35], v[12:13], v[92:93] op_sel:[0,0,1] op_sel_hi:[0,1,0]
	v_pk_fma_f32 v[92:93], v[36:37], v[14:15], v[94:95] op_sel:[0,0,1] op_sel_hi:[1,1,0] neg_lo:[0,0,1] neg_hi:[0,0,1]
	v_pk_fma_f32 v[36:37], v[36:37], v[14:15], v[94:95] op_sel:[0,0,1] op_sel_hi:[0,1,0]
	v_pk_fma_f32 v[94:95], v[38:39], v[16:17], v[96:97] op_sel:[0,0,1] op_sel_hi:[1,1,0] neg_lo:[0,0,1] neg_hi:[0,0,1]
	v_pk_fma_f32 v[38:39], v[38:39], v[16:17], v[96:97] op_sel:[0,0,1] op_sel_hi:[0,1,0]
	v_pk_fma_f32 v[96:97], v[74:75], v[18:19], v[76:77] op_sel:[0,0,1] op_sel_hi:[1,1,0] neg_lo:[0,0,1] neg_hi:[0,0,1]
	v_pk_fma_f32 v[74:75], v[74:75], v[18:19], v[76:77] op_sel:[0,0,1] op_sel_hi:[0,1,0]
	v_pk_fma_f32 v[98:99], v[22:23], v[0:1], v[100:101] op_sel:[0,0,1] op_sel_hi:[1,1,0] neg_lo:[0,0,1] neg_hi:[0,0,1]
	v_pk_fma_f32 v[22:23], v[22:23], v[0:1], v[100:101] op_sel:[0,0,1] op_sel_hi:[0,1,0]
	v_pk_fma_f32 v[80:81], v[24:25], v[2:3], v[78:79] op_sel:[0,0,1] op_sel_hi:[1,1,0] neg_lo:[0,0,1] neg_hi:[0,0,1]
	v_pk_fma_f32 v[24:25], v[24:25], v[2:3], v[78:79] op_sel:[0,0,1] op_sel_hi:[0,1,0]
	v_mov_b32_e32 v99, v23
	v_mov_b32_e32 v97, v75
	;; [unrolled: 1-line block ×4, first 2 shown]
	v_pk_add_f32 v[116:117], v[98:99], v[96:97] neg_lo:[0,1] neg_hi:[0,1]
	v_mov_b32_e32 v83, v27
	v_mov_b32_e32 v93, v37
	v_pk_add_f32 v[78:79], v[98:99], v[96:97]
	v_pk_add_f32 v[118:119], v[80:81], v[94:95] neg_lo:[0,1] neg_hi:[0,1]
	v_pk_mul_f32 v[22:23], v[116:117], s[14:15] op_sel:[1,0] op_sel_hi:[0,0]
	v_mov_b32_e32 v85, v29
	v_mov_b32_e32 v91, v35
	v_pk_add_f32 v[76:77], v[80:81], v[94:95]
	v_pk_add_f32 v[120:121], v[82:83], v[92:93] neg_lo:[0,1] neg_hi:[0,1]
	v_pk_mul_f32 v[24:25], v[118:119], s[28:29] op_sel:[1,0] op_sel_hi:[0,0]
	v_pk_fma_f32 v[112:113], v[78:79], s[2:3], v[22:23] op_sel_hi:[1,0,1]
	v_pk_fma_f32 v[114:115], v[78:79], s[2:3], v[22:23] op_sel_hi:[1,0,1] neg_lo:[0,0,1] neg_hi:[0,0,1]
	v_mov_b32_e32 v87, v31
	v_mov_b32_e32 v89, v33
	v_pk_add_f32 v[38:39], v[82:83], v[92:93]
	v_pk_add_f32 v[122:123], v[84:85], v[90:91] neg_lo:[0,1] neg_hi:[0,1]
	v_pk_mul_f32 v[26:27], v[120:121], s[18:19] op_sel:[1,0] op_sel_hi:[0,0]
	v_pk_fma_f32 v[108:109], v[76:77], s[10:11], v[24:25] op_sel_hi:[1,0,1]
	v_pk_fma_f32 v[110:111], v[76:77], s[10:11], v[24:25] op_sel_hi:[1,0,1] neg_lo:[0,0,1] neg_hi:[0,0,1]
	;; [unrolled: 7-line block ×3, first 2 shown]
	v_mov_b32_e32 v24, v108
	v_mov_b32_e32 v25, v111
	v_pk_add_f32 v[22:23], v[20:21], v[22:23]
	v_pk_add_f32 v[30:31], v[86:87], v[88:89]
	v_pk_mul_f32 v[32:33], v[124:125], s[24:25] op_sel:[1,0] op_sel_hi:[0,0]
	v_pk_fma_f32 v[100:101], v[34:35], s[16:17], v[28:29] op_sel_hi:[1,0,1]
	v_pk_fma_f32 v[102:103], v[34:35], s[16:17], v[28:29] op_sel_hi:[1,0,1] neg_lo:[0,0,1] neg_hi:[0,0,1]
	v_mov_b32_e32 v26, v104
	v_mov_b32_e32 v27, v107
	v_pk_add_f32 v[22:23], v[24:25], v[22:23]
	v_mov_b32_e32 v28, v100
	v_mov_b32_e32 v29, v103
	v_pk_add_f32 v[22:23], v[26:27], v[22:23]
	v_pk_fma_f32 v[126:127], v[30:31], s[22:23], v[32:33] op_sel_hi:[1,0,1]
	v_pk_fma_f32 v[128:129], v[30:31], s[22:23], v[32:33] op_sel_hi:[1,0,1] neg_lo:[0,0,1] neg_hi:[0,0,1]
	v_pk_add_f32 v[22:23], v[28:29], v[22:23]
	v_mov_b32_e32 v24, v126
	v_mov_b32_e32 v25, v129
	v_pk_add_f32 v[74:75], v[24:25], v[22:23]
	v_mov_b32_e32 v22, v70
	v_mov_b32_e32 v23, v70
	;; [unrolled: 1-line block ×15, first 2 shown]
	v_lshl_add_u64 v[26:27], s[8:9], 0, v[62:63]
	s_and_saveexec_b64 s[26:27], vcc
	s_cbranch_execz .LBB0_5
; %bb.4:
	v_pk_add_f32 v[98:99], v[20:21], v[98:99]
	v_mov_b32_e32 v138, v117
	v_pk_add_f32 v[80:81], v[98:99], v[80:81]
	v_mov_b32_e32 v139, v116
	;; [unrolled: 2-line block ×4, first 2 shown]
	v_pk_add_f32 v[80:81], v[80:81], v[86:87]
	v_pk_mul_f32 v[82:83], v[138:139], s[28:29] op_sel_hi:[1,0]
	v_pk_add_f32 v[80:81], v[80:81], v[88:89]
	v_pk_fma_f32 v[84:85], v[78:79], s[10:11], v[82:83] op_sel_hi:[1,0,1] neg_lo:[0,0,1] neg_hi:[0,0,1]
	v_pk_fma_f32 v[82:83], v[78:79], s[10:11], v[82:83] op_sel_hi:[1,0,1]
	v_pk_mul_f32 v[88:89], v[116:117], s[20:21] op_sel_hi:[1,0]
	v_pk_add_f32 v[80:81], v[80:81], v[90:91]
	v_mov_b32_e32 v86, v84
	v_mov_b32_e32 v87, v83
	v_pk_fma_f32 v[90:91], v[76:77], s[16:17], v[88:89] op_sel_hi:[1,0,1] neg_lo:[0,0,1] neg_hi:[0,0,1]
	v_pk_fma_f32 v[88:89], v[76:77], s[16:17], v[88:89] op_sel_hi:[1,0,1]
	v_mov_b32_e32 v118, v121
	v_mov_b32_e32 v119, v120
	v_pk_add_f32 v[80:81], v[80:81], v[92:93]
	v_pk_add_f32 v[86:87], v[20:21], v[86:87]
	v_mov_b32_e32 v92, v90
	v_mov_b32_e32 v93, v89
	s_mov_b32 s28, 0x3e903f40
	v_pk_add_f32 v[86:87], v[92:93], v[86:87]
	v_pk_mul_f32 v[92:93], v[118:119], s[28:29] op_sel_hi:[1,0]
	v_pk_add_f32 v[80:81], v[80:81], v[94:95]
	v_pk_fma_f32 v[94:95], v[38:39], s[22:23], v[92:93] op_sel_hi:[1,0,1] neg_lo:[0,0,1] neg_hi:[0,0,1]
	v_pk_fma_f32 v[92:93], v[38:39], s[22:23], v[92:93] op_sel_hi:[1,0,1]
	v_mov_b32_e32 v120, v123
	v_mov_b32_e32 v121, v122
	v_pk_add_f32 v[80:81], v[80:81], v[96:97]
	v_mov_b32_e32 v96, v94
	v_mov_b32_e32 v97, v93
	s_mov_b32 s30, 0x3f7d64f0
	v_mov_b32_e32 v115, v113
	v_pk_add_f32 v[86:87], v[96:97], v[86:87]
	v_pk_mul_f32 v[96:97], v[120:121], s[30:31] op_sel_hi:[1,0]
	ds_write_b64 v130, v[80:81]
	v_pk_add_f32 v[80:81], v[20:21], v[114:115]
	v_mov_b32_e32 v111, v109
	v_pk_fma_f32 v[98:99], v[34:35], s[12:13], v[96:97] op_sel_hi:[1,0,1] neg_lo:[0,0,1] neg_hi:[0,0,1]
	v_pk_fma_f32 v[96:97], v[34:35], s[12:13], v[96:97] op_sel_hi:[1,0,1]
	v_mov_b32_e32 v122, v125
	v_mov_b32_e32 v123, v124
	v_pk_add_f32 v[80:81], v[110:111], v[80:81]
	v_mov_b32_e32 v107, v105
	v_mov_b32_e32 v103, v101
	;; [unrolled: 1-line block ×4, first 2 shown]
	s_mov_b32 s34, 0x3f0a6770
	v_pk_add_f32 v[80:81], v[106:107], v[80:81]
	v_pk_add_f32 v[86:87], v[100:101], v[86:87]
	v_pk_mul_f32 v[100:101], v[122:123], s[34:35] op_sel_hi:[1,0]
	v_pk_add_f32 v[80:81], v[102:103], v[80:81]
	v_pk_fma_f32 v[102:103], v[30:31], s[2:3], v[100:101] op_sel_hi:[1,0,1] neg_lo:[0,0,1] neg_hi:[0,0,1]
	v_pk_fma_f32 v[100:101], v[30:31], s[2:3], v[100:101] op_sel_hi:[1,0,1]
	v_mov_b32_e32 v129, v127
	v_mov_b32_e32 v104, v102
	v_mov_b32_e32 v105, v101
	v_lshl_add_u32 v63, v47, 3, v131
	v_pk_add_f32 v[80:81], v[128:129], v[80:81]
	v_pk_add_f32 v[86:87], v[104:105], v[86:87]
	ds_write2_b64 v63, v[80:81], v[86:87] offset0:20 offset1:40
	v_pk_mul_f32 v[80:81], v[138:139], s[18:19] op_sel_hi:[1,0]
	v_pk_mul_f32 v[86:87], v[116:117], s[28:29] op_sel_hi:[1,0]
	v_pk_fma_f32 v[110:111], v[78:79], s[12:13], v[80:81] op_sel_hi:[1,0,1] neg_lo:[0,0,1] neg_hi:[0,0,1]
	v_pk_fma_f32 v[80:81], v[78:79], s[12:13], v[80:81] op_sel_hi:[1,0,1]
	s_mov_b32 s28, 0x3f68dda4
	v_mov_b32_e32 v112, v110
	v_mov_b32_e32 v113, v81
	v_pk_fma_f32 v[114:115], v[76:77], s[22:23], v[86:87] op_sel_hi:[1,0,1] neg_lo:[0,0,1] neg_hi:[0,0,1]
	v_pk_fma_f32 v[86:87], v[76:77], s[22:23], v[86:87] op_sel_hi:[1,0,1]
	v_pk_mul_f32 v[104:105], v[118:119], s[28:29] op_sel_hi:[1,0]
	v_pk_add_f32 v[112:113], v[20:21], v[112:113]
	v_mov_b32_e32 v124, v114
	v_mov_b32_e32 v125, v87
	v_pk_add_f32 v[112:113], v[124:125], v[112:113]
	v_pk_fma_f32 v[124:125], v[38:39], s[10:11], v[104:105] op_sel_hi:[1,0,1] neg_lo:[0,0,1] neg_hi:[0,0,1]
	v_pk_fma_f32 v[104:105], v[38:39], s[10:11], v[104:105] op_sel_hi:[1,0,1]
	v_pk_mul_f32 v[106:107], v[120:121], s[14:15] op_sel_hi:[1,0]
	v_mov_b32_e32 v126, v124
	v_mov_b32_e32 v127, v105
	v_pk_add_f32 v[112:113], v[126:127], v[112:113]
	v_pk_fma_f32 v[126:127], v[34:35], s[2:3], v[106:107] op_sel_hi:[1,0,1] neg_lo:[0,0,1] neg_hi:[0,0,1]
	v_pk_fma_f32 v[106:107], v[34:35], s[2:3], v[106:107] op_sel_hi:[1,0,1]
	v_pk_mul_f32 v[108:109], v[122:123], s[20:21] op_sel_hi:[1,0]
	v_mov_b32_e32 v128, v126
	v_mov_b32_e32 v129, v107
	v_pk_add_f32 v[112:113], v[128:129], v[112:113]
	v_pk_fma_f32 v[128:129], v[30:31], s[16:17], v[108:109] op_sel_hi:[1,0,1] neg_lo:[0,0,1] neg_hi:[0,0,1]
	v_pk_fma_f32 v[108:109], v[30:31], s[16:17], v[108:109] op_sel_hi:[1,0,1]
	v_mov_b32_e32 v140, v128
	v_mov_b32_e32 v141, v109
	v_pk_add_f32 v[112:113], v[140:141], v[112:113]
	v_pk_mul_f32 v[140:141], v[138:139], s[20:21] op_sel_hi:[1,0]
	v_pk_mul_f32 v[146:147], v[116:117], s[30:31] op_sel_hi:[1,0]
	v_pk_fma_f32 v[142:143], v[78:79], s[16:17], v[140:141] op_sel_hi:[1,0,1] neg_lo:[0,0,1] neg_hi:[0,0,1]
	v_pk_fma_f32 v[140:141], v[78:79], s[16:17], v[140:141] op_sel_hi:[1,0,1]
	v_mov_b32_e32 v144, v142
	v_mov_b32_e32 v145, v141
	v_pk_fma_f32 v[148:149], v[76:77], s[12:13], v[146:147] op_sel_hi:[1,0,1] neg_lo:[0,0,1] neg_hi:[0,0,1]
	v_pk_fma_f32 v[146:147], v[76:77], s[12:13], v[146:147] op_sel_hi:[1,0,1]
	v_pk_add_f32 v[144:145], v[20:21], v[144:145]
	v_mov_b32_e32 v150, v148
	v_mov_b32_e32 v151, v147
	v_pk_add_f32 v[144:145], v[150:151], v[144:145]
	v_pk_mul_f32 v[150:151], v[118:119], s[14:15] op_sel_hi:[1,0]
	v_pk_mul_f32 v[116:117], v[116:117], s[34:35] op_sel_hi:[1,0]
	v_pk_fma_f32 v[152:153], v[38:39], s[2:3], v[150:151] op_sel_hi:[1,0,1] neg_lo:[0,0,1] neg_hi:[0,0,1]
	v_pk_fma_f32 v[150:151], v[38:39], s[2:3], v[150:151] op_sel_hi:[1,0,1]
	v_mov_b32_e32 v154, v152
	v_mov_b32_e32 v155, v151
	v_pk_add_f32 v[144:145], v[154:155], v[144:145]
	v_pk_mul_f32 v[154:155], v[120:121], s[24:25] op_sel_hi:[1,0]
	v_pk_mul_f32 v[118:119], v[118:119], s[20:21] op_sel_hi:[1,0]
	v_pk_fma_f32 v[156:157], v[34:35], s[22:23], v[154:155] op_sel_hi:[1,0,1] neg_lo:[0,0,1] neg_hi:[0,0,1]
	v_pk_fma_f32 v[154:155], v[34:35], s[22:23], v[154:155] op_sel_hi:[1,0,1]
	v_mov_b32_e32 v158, v156
	v_mov_b32_e32 v159, v155
	v_pk_add_f32 v[144:145], v[158:159], v[144:145]
	v_pk_mul_f32 v[158:159], v[122:123], s[28:29] op_sel_hi:[1,0]
	v_pk_mul_f32 v[120:121], v[120:121], s[28:29] op_sel_hi:[1,0]
	v_pk_fma_f32 v[160:161], v[30:31], s[10:11], v[158:159] op_sel_hi:[1,0,1] neg_lo:[0,0,1] neg_hi:[0,0,1]
	v_pk_fma_f32 v[158:159], v[30:31], s[10:11], v[158:159] op_sel_hi:[1,0,1]
	v_mov_b32_e32 v162, v160
	v_mov_b32_e32 v163, v159
	v_pk_add_f32 v[144:145], v[162:163], v[144:145]
	ds_write2_b64 v63, v[112:113], v[144:145] offset0:60 offset1:80
	v_pk_mul_f32 v[112:113], v[138:139], s[24:25] op_sel_hi:[1,0]
	v_pk_fma_f32 v[144:145], v[76:77], s[2:3], v[116:117] op_sel_hi:[1,0,1] neg_lo:[0,0,1] neg_hi:[0,0,1]
	v_pk_fma_f32 v[138:139], v[78:79], s[22:23], v[112:113] op_sel_hi:[1,0,1] neg_lo:[0,0,1] neg_hi:[0,0,1]
	v_pk_fma_f32 v[78:79], v[78:79], s[22:23], v[112:113] op_sel_hi:[1,0,1]
	v_mov_b32_e32 v112, v138
	v_mov_b32_e32 v113, v79
	v_pk_fma_f32 v[76:77], v[76:77], s[2:3], v[116:117] op_sel_hi:[1,0,1]
	v_pk_add_f32 v[112:113], v[20:21], v[112:113]
	v_mov_b32_e32 v116, v144
	v_mov_b32_e32 v117, v77
	v_pk_add_f32 v[112:113], v[116:117], v[112:113]
	v_pk_fma_f32 v[116:117], v[38:39], s[16:17], v[118:119] op_sel_hi:[1,0,1] neg_lo:[0,0,1] neg_hi:[0,0,1]
	v_pk_fma_f32 v[38:39], v[38:39], s[16:17], v[118:119] op_sel_hi:[1,0,1]
	v_mov_b32_e32 v118, v116
	v_mov_b32_e32 v119, v39
	v_mov_b32_e32 v79, v139
	v_pk_add_f32 v[112:113], v[118:119], v[112:113]
	v_pk_fma_f32 v[118:119], v[34:35], s[10:11], v[120:121] op_sel_hi:[1,0,1] neg_lo:[0,0,1] neg_hi:[0,0,1]
	v_pk_fma_f32 v[34:35], v[34:35], s[10:11], v[120:121] op_sel_hi:[1,0,1]
	v_pk_add_f32 v[78:79], v[20:21], v[78:79]
	v_mov_b32_e32 v77, v145
	v_pk_mul_f32 v[122:123], v[122:123], s[18:19] op_sel_hi:[1,0]
	v_mov_b32_e32 v120, v118
	v_mov_b32_e32 v121, v35
	v_pk_add_f32 v[76:77], v[76:77], v[78:79]
	v_mov_b32_e32 v39, v117
	v_pk_add_f32 v[112:113], v[120:121], v[112:113]
	v_pk_fma_f32 v[120:121], v[30:31], s[12:13], v[122:123] op_sel_hi:[1,0,1] neg_lo:[0,0,1] neg_hi:[0,0,1]
	v_pk_fma_f32 v[30:31], v[30:31], s[12:13], v[122:123] op_sel_hi:[1,0,1]
	v_pk_add_f32 v[38:39], v[38:39], v[76:77]
	v_mov_b32_e32 v35, v119
	v_mov_b32_e32 v122, v120
	;; [unrolled: 1-line block ×3, first 2 shown]
	v_pk_add_f32 v[34:35], v[34:35], v[38:39]
	v_mov_b32_e32 v31, v121
	v_pk_add_f32 v[112:113], v[122:123], v[112:113]
	v_pk_add_f32 v[30:31], v[30:31], v[34:35]
	v_mov_b32_e32 v141, v143
	v_mov_b32_e32 v81, v111
	;; [unrolled: 1-line block ×3, first 2 shown]
	ds_write2_b64 v63, v[112:113], v[30:31] offset0:100 offset1:120
	v_pk_add_f32 v[30:31], v[20:21], v[140:141]
	v_mov_b32_e32 v147, v149
	v_pk_add_f32 v[34:35], v[20:21], v[80:81]
	v_mov_b32_e32 v87, v115
	;; [unrolled: 2-line block ×12, first 2 shown]
	v_pk_add_f32 v[30:31], v[158:159], v[30:31]
	v_pk_add_f32 v[34:35], v[108:109], v[34:35]
	;; [unrolled: 1-line block ×3, first 2 shown]
	ds_write2_b64 v63, v[30:31], v[34:35] offset0:140 offset1:160
	ds_write2_b64 v63, v[20:21], v[74:75] offset0:180 offset1:200
.LBB0_5:
	s_or_b64 exec, exec, s[26:27]
	s_waitcnt lgkmcnt(0)
	s_barrier
	global_load_dwordx2 v[20:21], v[26:27], off offset:1760
	s_add_u32 s2, s8, 0x6e0
	s_addc_u32 s3, s9, 0
	global_load_dwordx2 v[26:27], v62, s[2:3] offset:176
	global_load_dwordx2 v[30:31], v62, s[2:3] offset:352
	;; [unrolled: 1-line block ×9, first 2 shown]
	ds_read2_b64 v[76:79], v130 offset1:22
	ds_read2_b64 v[80:83], v130 offset0:44 offset1:66
	ds_read2_b64 v[84:87], v130 offset0:88 offset1:110
	ds_read2_b64 v[88:91], v130 offset0:132 offset1:154
	ds_read2_b64 v[92:95], v130 offset0:176 offset1:198
	s_mov_b32 s10, 0x3f737871
	s_mov_b32 s2, 0x3f167918
	;; [unrolled: 1-line block ×4, first 2 shown]
	s_waitcnt vmcnt(6) lgkmcnt(3)
	v_mul_f32_e32 v106, v83, v35
	s_waitcnt vmcnt(5) lgkmcnt(2)
	v_mul_f32_e32 v107, v85, v39
	s_waitcnt vmcnt(4)
	v_mul_f32_e32 v108, v87, v97
	v_mul_f32_e32 v62, v77, v21
	;; [unrolled: 1-line block ×3, first 2 shown]
	v_fma_f32 v62, v76, v20, -v62
	v_fmac_f32_e32 v63, v77, v20
	v_mul_f32_e32 v20, v79, v27
	v_mul_f32_e32 v21, v78, v27
	;; [unrolled: 1-line block ×3, first 2 shown]
	s_waitcnt vmcnt(3) lgkmcnt(1)
	v_mul_f32_e32 v109, v89, v99
	v_mul_f32_e32 v77, v88, v99
	;; [unrolled: 1-line block ×6, first 2 shown]
	s_waitcnt vmcnt(2)
	v_mul_f32_e32 v110, v91, v101
	v_mul_f32_e32 v97, v90, v101
	s_waitcnt vmcnt(1) lgkmcnt(0)
	v_mul_f32_e32 v111, v93, v103
	v_mul_f32_e32 v99, v92, v103
	s_waitcnt vmcnt(0)
	v_mul_f32_e32 v103, v95, v105
	v_mul_f32_e32 v101, v94, v105
	v_fma_f32 v20, v78, v26, -v20
	v_fmac_f32_e32 v21, v79, v26
	v_fma_f32 v26, v80, v30, -v76
	v_fma_f32 v76, v88, v98, -v109
	v_fmac_f32_e32 v77, v89, v98
	v_fmac_f32_e32 v27, v81, v30
	v_fma_f32 v30, v82, v34, -v106
	v_fmac_f32_e32 v31, v83, v34
	v_fma_f32 v34, v84, v38, -v107
	;; [unrolled: 2-line block ×6, first 2 shown]
	v_fmac_f32_e32 v101, v95, v104
	ds_write2_b64 v130, v[62:63], v[20:21] offset1:22
	ds_write2_b64 v130, v[26:27], v[30:31] offset0:44 offset1:66
	ds_write2_b64 v130, v[34:35], v[38:39] offset0:88 offset1:110
	;; [unrolled: 1-line block ×4, first 2 shown]
	s_waitcnt lgkmcnt(0)
	s_barrier
	ds_read2_b64 v[76:79], v130 offset1:22
	ds_read2_b64 v[80:83], v130 offset0:44 offset1:66
	ds_read2_b64 v[84:87], v130 offset0:176 offset1:198
	;; [unrolled: 1-line block ×4, first 2 shown]
	s_waitcnt lgkmcnt(0)
	v_mov_b32_e32 v34, v82
	v_mov_b32_e32 v35, v86
	;; [unrolled: 1-line block ×4, first 2 shown]
	v_pk_add_f32 v[38:39], v[78:79], v[82:83]
	v_pk_add_f32 v[26:27], v[82:83], v[86:87]
	v_pk_add_f32 v[30:31], v[30:31], v[34:35] neg_lo:[0,1] neg_hi:[0,1]
	v_pk_add_f32 v[34:35], v[38:39], v[90:91]
	v_fma_f32 v116, -0.5, v26, v78
	v_mov_b32_e32 v26, v31
	v_pk_add_f32 v[34:35], v[34:35], v[94:95]
	v_mov_b32_e32 v62, v91
	v_mov_b32_e32 v63, v95
	v_fma_f32 v117, -0.5, v27, v79
	v_pk_add_f32 v[26:27], v[30:31], v[26:27]
	v_pk_add_f32 v[30:31], v[34:35], v[86:87]
	v_mov_b32_e32 v34, v83
	v_mov_b32_e32 v35, v87
	v_pk_add_f32 v[34:35], v[62:63], v[34:35] neg_lo:[0,1] neg_hi:[0,1]
	v_pk_add_f32 v[62:63], v[80:81], v[84:85] neg_lo:[0,1] neg_hi:[0,1]
	v_mov_b32_e32 v38, v35
	v_pk_add_f32 v[34:35], v[34:35], v[38:39]
	v_pk_add_f32 v[38:39], v[88:89], v[92:93]
	v_pk_mul_f32 v[98:99], v[62:63], s[10:11] op_sel_hi:[1,0]
	v_pk_fma_f32 v[38:39], v[38:39], 0.5, v[76:77] op_sel_hi:[1,0,1] neg_lo:[1,0,0] neg_hi:[1,0,0]
	v_pk_add_f32 v[100:101], v[88:89], v[92:93] neg_lo:[0,1] neg_hi:[0,1]
	v_pk_add_f32 v[104:105], v[80:81], v[88:89] neg_lo:[0,1] neg_hi:[0,1]
	;; [unrolled: 1-line block ×3, first 2 shown]
	v_pk_mul_f32 v[102:103], v[100:101], s[2:3] op_sel_hi:[1,0]
	v_pk_add_f32 v[104:105], v[104:105], v[106:107]
	v_pk_add_f32 v[106:107], v[38:39], v[98:99] op_sel:[0,1] op_sel_hi:[1,0] neg_lo:[0,1] neg_hi:[0,1]
	v_pk_add_f32 v[38:39], v[38:39], v[98:99] op_sel:[0,1] op_sel_hi:[1,0]
	v_pk_add_f32 v[112:113], v[90:91], v[94:95] neg_lo:[0,1] neg_hi:[0,1]
	v_pk_add_f32 v[38:39], v[38:39], v[102:103] op_sel:[0,1] op_sel_hi:[1,0]
	v_pk_add_f32 v[102:103], v[106:107], v[102:103] op_sel:[0,1] op_sel_hi:[1,0] neg_lo:[0,1] neg_hi:[0,1]
	v_mov_b32_e32 v99, v39
	v_mov_b32_e32 v98, v102
	v_pk_fma_f32 v[106:107], v[104:105], s[8:9], v[98:99] op_sel_hi:[1,0,1]
	v_pk_add_f32 v[98:99], v[90:91], v[94:95]
	v_pk_mul_f32 v[114:115], v[112:113], s[2:3] op_sel_hi:[1,0]
	v_pk_fma_f32 v[78:79], v[98:99], 0.5, v[78:79] op_sel_hi:[1,0,1] neg_lo:[1,0,0] neg_hi:[1,0,0]
	v_pk_add_f32 v[98:99], v[82:83], v[86:87] neg_lo:[0,1] neg_hi:[0,1]
	v_pk_add_f32 v[82:83], v[82:83], v[90:91] neg_lo:[0,1] neg_hi:[0,1]
	v_pk_mul_f32 v[108:109], v[98:99], s[10:11] op_sel_hi:[1,0]
	v_pk_add_f32 v[86:87], v[86:87], v[94:95] neg_lo:[0,1] neg_hi:[0,1]
	v_pk_add_f32 v[110:111], v[78:79], v[108:109] op_sel:[0,1] op_sel_hi:[1,0]
	v_pk_add_f32 v[82:83], v[82:83], v[86:87]
	v_pk_add_f32 v[110:111], v[114:115], v[110:111] op_sel:[1,0] op_sel_hi:[0,1]
	v_pk_add_f32 v[78:79], v[78:79], v[108:109] op_sel:[0,1] op_sel_hi:[1,0] neg_lo:[0,1] neg_hi:[0,1]
	v_pk_fma_f32 v[86:87], v[82:83], s[8:9], v[110:111] op_sel_hi:[1,0,1]
	v_mov_b32_e32 v27, v99
	s_mov_b32 s9, s2
	v_pk_add_f32 v[78:79], v[78:79], v[114:115] op_sel:[0,1] op_sel_hi:[1,0] neg_lo:[0,1] neg_hi:[0,1]
	v_fmamk_f32 v35, v113, 0x3f737871, v116
	v_pk_mul_f32 v[26:27], v[26:27], s[8:9]
	v_mov_b32_e32 v110, v78
	v_pk_add_f32 v[20:21], v[76:77], v[80:81]
	v_sub_f32_e32 v35, v35, v27
	v_pk_fma_f32 v[94:95], v[82:83], s[8:9], v[110:111] op_sel_hi:[1,0,1]
	v_pk_add_f32 v[20:21], v[20:21], v[88:89]
	v_add_f32_e32 v90, v26, v35
	v_mov_b32_e32 v35, v98
	v_pk_mul_f32 v[98:99], v[94:95], s[2:3] op_sel_hi:[1,0]
	v_pk_add_f32 v[20:21], v[20:21], v[92:93]
	v_fmac_f32_e32 v116, 0xbf737871, v113
	v_pk_fma_f32 v[108:109], v[94:95], s[12:13], v[98:99] op_sel:[0,0,1] op_sel_hi:[1,0,0] neg_lo:[0,0,1] neg_hi:[0,0,1]
	v_pk_fma_f32 v[94:95], v[94:95], s[12:13], v[98:99] op_sel:[0,0,1] op_sel_hi:[1,0,0]
	v_pk_add_f32 v[20:21], v[20:21], v[84:85]
	v_add_f32_e32 v27, v27, v116
	v_mov_b32_e32 v109, v95
	v_pk_add_f32 v[94:95], v[80:81], v[84:85]
	v_pk_add_f32 v[80:81], v[88:89], v[80:81] neg_lo:[0,1] neg_hi:[0,1]
	v_pk_add_f32 v[84:85], v[92:93], v[84:85] neg_lo:[0,1] neg_hi:[0,1]
	v_add_f32_e32 v26, v26, v27
	v_fmamk_f32 v27, v112, 0xbf737871, v117
	v_pk_mul_f32 v[34:35], v[34:35], s[8:9]
	v_pk_fma_f32 v[76:77], v[94:95], 0.5, v[76:77] op_sel_hi:[1,0,1] neg_lo:[1,0,0] neg_hi:[1,0,0]
	v_pk_add_f32 v[80:81], v[80:81], v[84:85]
	v_pk_mul_f32 v[84:85], v[100:101], s[10:11] op_sel_hi:[1,0]
	v_add_f32_e32 v27, v35, v27
	v_fmac_f32_e32 v117, 0x3f737871, v112
	v_pk_mul_f32 v[62:63], v[62:63], s[2:3] op_sel_hi:[1,0]
	v_pk_add_f32 v[88:89], v[76:77], v[84:85] op_sel:[0,1] op_sel_hi:[1,0]
	v_pk_add_f32 v[76:77], v[76:77], v[84:85] op_sel:[0,1] op_sel_hi:[1,0] neg_lo:[0,1] neg_hi:[0,1]
	v_pk_fma_f32 v[82:83], v[82:83], s[8:9], v[78:79] op_sel_hi:[1,0,1]
	v_add_f32_e32 v78, v34, v27
	v_sub_f32_e32 v27, v117, v35
	v_pk_add_f32 v[84:85], v[76:77], v[62:63] op_sel:[0,1] op_sel_hi:[1,0]
	v_pk_add_f32 v[62:63], v[88:89], v[62:63] op_sel:[0,1] op_sel_hi:[1,0] neg_lo:[0,1] neg_hi:[0,1]
	v_add_f32_e32 v34, v34, v27
	v_mov_b32_e32 v76, v62
	v_mov_b32_e32 v77, v85
	s_mov_b32 s11, s8
	v_pk_fma_f32 v[88:89], v[80:81], s[8:9], v[76:77] op_sel_hi:[1,0,1]
	s_mov_b32 s9, s10
	v_pk_mul_f32 v[76:77], v[78:79], s[10:11] op_sel_hi:[0,1]
	s_mov_b32 s12, 0xbe9e377a
	s_mov_b32 s13, s10
	v_pk_mul_f32 v[34:35], v[34:35], s[10:11] op_sel_hi:[0,1]
	v_mov_b32_e32 v85, v63
	v_mov_b32_e32 v39, v103
	v_pk_fma_f32 v[92:93], v[90:91], s[8:9], v[76:77] neg_lo:[0,0,1] neg_hi:[0,0,1]
	v_pk_fma_f32 v[76:77], v[90:91], s[8:9], v[76:77] op_sel_hi:[0,1,1]
	v_pk_fma_f32 v[26:27], v[26:27], s[12:13], v[34:35] op_sel_hi:[0,1,1] neg_lo:[0,0,1] neg_hi:[0,0,1]
	v_pk_fma_f32 v[34:35], v[80:81], s[8:9], v[84:85] op_sel_hi:[1,0,1]
	v_pk_fma_f32 v[38:39], v[104:105], s[8:9], v[38:39] op_sel_hi:[1,0,1]
	s_mov_b32 s8, 0xbf4f1bbd
	s_mov_b32 s9, s2
	;; [unrolled: 1-line block ×4, first 2 shown]
	v_mov_b32_e32 v93, v77
	v_pk_mul_f32 v[62:63], v[82:83], s[2:3] op_sel:[1,0]
	v_pk_add_f32 v[76:77], v[88:89], v[92:93]
	v_pk_add_f32 v[78:79], v[34:35], v[26:27]
	v_pk_fma_f32 v[62:63], v[86:87], s[8:9], v[62:63] op_sel_hi:[0,1,1]
	s_barrier
	ds_write_b128 v132, v[76:79] offset:16
	v_pk_add_f32 v[76:77], v[38:39], v[62:63]
	v_pk_add_f32 v[78:79], v[20:21], v[30:31] neg_lo:[0,1] neg_hi:[0,1]
	ds_write_b128 v132, v[76:79] offset:32
	v_pk_add_f32 v[76:77], v[106:107], v[108:109] neg_lo:[0,1] neg_hi:[0,1]
	v_pk_add_f32 v[78:79], v[88:89], v[92:93] neg_lo:[0,1] neg_hi:[0,1]
	v_pk_add_f32 v[96:97], v[20:21], v[30:31]
	v_pk_add_f32 v[98:99], v[106:107], v[108:109]
	ds_write_b128 v132, v[76:79] offset:48
	v_pk_add_f32 v[76:77], v[34:35], v[26:27] neg_lo:[0,1] neg_hi:[0,1]
	v_pk_add_f32 v[78:79], v[38:39], v[62:63] neg_lo:[0,1] neg_hi:[0,1]
	ds_write_b128 v132, v[96:99]
	ds_write_b128 v132, v[76:79] offset:64
	s_waitcnt lgkmcnt(0)
	s_barrier
	ds_read2_b64 v[76:79], v130 offset0:88 offset1:110
	ds_read2_b64 v[80:83], v130 offset1:22
	ds_read2_b64 v[84:87], v130 offset0:132 offset1:154
	s_waitcnt lgkmcnt(2)
	v_pk_mul_f32 v[20:21], v[70:71], v[78:79]
	s_nop 0
	v_pk_fma_f32 v[26:27], v[22:23], v[78:79], v[20:21] op_sel:[0,0,1] op_sel_hi:[1,1,0]
	v_pk_fma_f32 v[20:21], v[22:23], v[78:79], v[20:21] op_sel:[0,0,1] op_sel_hi:[1,1,0] neg_lo:[0,0,1] neg_hi:[0,0,1]
	s_nop 0
	v_mov_b32_e32 v27, v21
	s_waitcnt lgkmcnt(0)
	v_pk_mul_f32 v[20:21], v[66:67], v[84:85]
	v_pk_add_f32 v[22:23], v[80:81], v[26:27] neg_lo:[0,1] neg_hi:[0,1]
	v_pk_fma_f32 v[26:27], v[24:25], v[84:85], v[20:21] op_sel:[0,0,1] op_sel_hi:[1,1,0]
	v_pk_fma_f32 v[20:21], v[24:25], v[84:85], v[20:21] op_sel:[0,0,1] op_sel_hi:[1,1,0] neg_lo:[0,0,1] neg_hi:[0,0,1]
	s_nop 0
	v_mov_b32_e32 v27, v21
	v_pk_mul_f32 v[20:21], v[68:69], v[86:87]
	ds_read2_b64 v[66:69], v130 offset0:176 offset1:198
	v_pk_add_f32 v[26:27], v[82:83], v[26:27] neg_lo:[0,1] neg_hi:[0,1]
	v_pk_fma_f32 v[30:31], v[28:29], v[86:87], v[20:21] op_sel:[0,0,1] op_sel_hi:[1,1,0]
	v_pk_fma_f32 v[20:21], v[28:29], v[86:87], v[20:21] op_sel:[0,0,1] op_sel_hi:[1,1,0] neg_lo:[0,0,1] neg_hi:[0,0,1]
	v_pk_fma_f32 v[24:25], v[82:83], 2.0, v[26:27] op_sel_hi:[1,0,1] neg_lo:[0,0,1] neg_hi:[0,0,1]
	ds_read2_b64 v[82:85], v130 offset0:44 offset1:66
	v_mov_b32_e32 v31, v21
	s_waitcnt lgkmcnt(1)
	v_pk_mul_f32 v[20:21], v[64:65], v[66:67]
	s_waitcnt lgkmcnt(0)
	v_pk_fma_f32 v[34:35], v[32:33], v[66:67], v[20:21] op_sel:[0,0,1] op_sel_hi:[1,1,0]
	v_pk_fma_f32 v[20:21], v[32:33], v[66:67], v[20:21] op_sel:[0,0,1] op_sel_hi:[1,1,0] neg_lo:[0,0,1] neg_hi:[0,0,1]
	v_pk_add_f32 v[30:31], v[82:83], v[30:31] neg_lo:[0,1] neg_hi:[0,1]
	v_mov_b32_e32 v35, v21
	v_pk_mul_f32 v[20:21], v[72:73], v[68:69]
	v_pk_add_f32 v[34:35], v[84:85], v[34:35] neg_lo:[0,1] neg_hi:[0,1]
	v_pk_fma_f32 v[38:39], v[36:37], v[68:69], v[20:21] op_sel:[0,0,1] op_sel_hi:[1,1,0]
	v_pk_fma_f32 v[20:21], v[36:37], v[68:69], v[20:21] op_sel:[0,0,1] op_sel_hi:[1,1,0] neg_lo:[0,0,1] neg_hi:[0,0,1]
	v_pk_fma_f32 v[28:29], v[82:83], 2.0, v[30:31] op_sel_hi:[1,0,1] neg_lo:[0,0,1] neg_hi:[0,0,1]
	v_mov_b32_e32 v39, v21
	v_pk_add_f32 v[38:39], v[76:77], v[38:39] neg_lo:[0,1] neg_hi:[0,1]
	v_pk_fma_f32 v[32:33], v[84:85], 2.0, v[34:35] op_sel_hi:[1,0,1] neg_lo:[0,0,1] neg_hi:[0,0,1]
	v_pk_fma_f32 v[36:37], v[76:77], 2.0, v[38:39] op_sel_hi:[1,0,1] neg_lo:[0,0,1] neg_hi:[0,0,1]
	;; [unrolled: 1-line block ×3, first 2 shown]
	s_barrier
	ds_write2_b64 v133, v[20:21], v[22:23] offset1:10
	ds_write2_b64 v134, v[24:25], v[26:27] offset1:10
	;; [unrolled: 1-line block ×5, first 2 shown]
	s_waitcnt lgkmcnt(0)
	s_barrier
	s_and_saveexec_b64 s[2:3], vcc
	s_cbranch_execz .LBB0_7
; %bb.6:
	ds_read2_b64 v[20:23], v130 offset1:20
	ds_read2_b64 v[24:27], v130 offset0:40 offset1:60
	ds_read2_b64 v[28:31], v130 offset0:80 offset1:100
	;; [unrolled: 1-line block ×4, first 2 shown]
	ds_read_b64 v[74:75], v130 offset:1600
.LBB0_7:
	s_or_b64 exec, exec, s[2:3]
	s_and_saveexec_b64 s[2:3], vcc
	s_cbranch_execz .LBB0_9
; %bb.8:
	s_waitcnt lgkmcnt(0)
	v_pk_mul_f32 v[64:65], v[18:19], v[74:75] op_sel:[0,1]
	v_pk_mul_f32 v[68:69], v[16:17], v[38:39] op_sel:[0,1]
	v_pk_fma_f32 v[84:85], v[18:19], v[74:75], v[64:65] op_sel:[0,0,1] op_sel_hi:[1,1,0]
	v_pk_fma_f32 v[18:19], v[18:19], v[74:75], v[64:65] op_sel:[0,0,1] op_sel_hi:[1,0,0] neg_lo:[1,0,0] neg_hi:[1,0,0]
	v_pk_mul_f32 v[66:67], v[2:3], v[24:25] op_sel:[0,1]
	v_mov_b32_e32 v85, v19
	v_pk_fma_f32 v[18:19], v[16:17], v[38:39], v[68:69] op_sel:[0,0,1] op_sel_hi:[1,1,0]
	v_pk_fma_f32 v[16:17], v[16:17], v[38:39], v[68:69] op_sel:[0,0,1] op_sel_hi:[1,0,0] neg_lo:[1,0,0] neg_hi:[1,0,0]
	v_pk_mul_f32 v[72:73], v[14:15], v[36:37] op_sel:[0,1]
	v_mov_b32_e32 v19, v17
	;; [unrolled: 4-line block ×8, first 2 shown]
	v_pk_fma_f32 v[6:7], v[4:5], v[30:31], v[80:81] op_sel:[0,0,1] op_sel_hi:[1,1,0]
	v_pk_fma_f32 v[4:5], v[4:5], v[30:31], v[80:81] op_sel:[0,0,1] op_sel_hi:[1,0,0] neg_lo:[1,0,0] neg_hi:[1,0,0]
	v_pk_add_f32 v[28:29], v[14:15], v[2:3] neg_lo:[0,1] neg_hi:[0,1]
	v_mov_b32_e32 v7, v5
	v_pk_fma_f32 v[4:5], v[0:1], v[22:23], v[62:63] op_sel:[0,0,1] op_sel_hi:[1,1,0]
	v_pk_fma_f32 v[0:1], v[0:1], v[22:23], v[62:63] op_sel:[0,0,1] op_sel_hi:[1,0,0] neg_lo:[1,0,0] neg_hi:[1,0,0]
	v_pk_add_f32 v[30:31], v[2:3], v[14:15]
	v_mov_b32_e32 v5, v1
	v_pk_add_f32 v[0:1], v[4:5], v[84:85] neg_lo:[0,1] neg_hi:[0,1]
	v_pk_add_f32 v[22:23], v[84:85], v[4:5]
	v_pk_add_f32 v[4:5], v[20:21], v[4:5]
	s_mov_b32 s18, 0xbf0a6770
	v_pk_add_f32 v[4:5], v[16:17], v[4:5]
	v_pk_add_f32 v[24:25], v[16:17], v[18:19] neg_lo:[0,1] neg_hi:[0,1]
	v_pk_add_f32 v[4:5], v[14:15], v[4:5]
	s_mov_b32 s8, 0x3f575c64
	v_pk_add_f32 v[4:5], v[12:13], v[4:5]
	v_pk_mul_f32 v[62:63], v[0:1], s[18:19] op_sel_hi:[1,0]
	v_pk_add_f32 v[4:5], v[6:7], v[4:5]
	s_mov_b32 s26, 0xbf68dda4
	v_pk_add_f32 v[4:5], v[10:11], v[4:5]
	v_pk_add_f32 v[26:27], v[18:19], v[16:17]
	;; [unrolled: 1-line block ×3, first 2 shown]
	v_pk_fma_f32 v[64:65], v[22:23], s[8:9], v[62:63] op_sel:[0,0,1] op_sel_hi:[1,0,0]
	v_pk_add_f32 v[2:3], v[2:3], v[4:5]
	v_pk_fma_f32 v[62:63], v[22:23], s[8:9], v[62:63] op_sel:[0,0,1] op_sel_hi:[1,0,0] neg_lo:[0,0,1] neg_hi:[0,0,1]
	v_pk_add_f32 v[2:3], v[18:19], v[2:3]
	s_mov_b32 s10, 0x3ed4b147
	v_pk_mul_f32 v[68:69], v[24:25], s[26:27] op_sel_hi:[1,0]
	v_pk_add_f32 v[2:3], v[84:85], v[2:3]
	v_mov_b32_e32 v66, v64
	v_mov_b32_e32 v67, v63
	v_pk_fma_f32 v[70:71], v[26:27], s[10:11], v[68:69] op_sel:[0,0,1] op_sel_hi:[1,0,0]
	v_pk_fma_f32 v[68:69], v[26:27], s[10:11], v[68:69] op_sel:[0,0,1] op_sel_hi:[1,0,0] neg_lo:[0,0,1] neg_hi:[0,0,1]
	ds_write_b64 v130, v[2:3]
	v_pk_mul_f32 v[2:3], v[0:1], s[26:27] op_sel_hi:[1,0]
	v_pk_add_f32 v[32:33], v[12:13], v[8:9] neg_lo:[0,1] neg_hi:[0,1]
	v_pk_add_f32 v[34:35], v[8:9], v[12:13]
	v_pk_add_f32 v[66:67], v[20:21], v[66:67]
	v_mov_b32_e32 v72, v70
	v_mov_b32_e32 v73, v69
	s_mov_b32 s16, 0xbf7d64f0
	s_mov_b32 s14, 0xbf27a4f4
	v_pk_fma_f32 v[4:5], v[22:23], s[10:11], v[2:3] op_sel:[0,0,1] op_sel_hi:[1,0,0]
	v_pk_fma_f32 v[2:3], v[22:23], s[10:11], v[2:3] op_sel:[0,0,1] op_sel_hi:[1,0,0] neg_lo:[0,0,1] neg_hi:[0,0,1]
	v_pk_mul_f32 v[8:9], v[24:25], s[20:21] op_sel_hi:[1,0]
	v_pk_add_f32 v[36:37], v[6:7], v[10:11] neg_lo:[0,1] neg_hi:[0,1]
	v_pk_add_f32 v[38:39], v[10:11], v[6:7]
	v_pk_add_f32 v[66:67], v[72:73], v[66:67]
	s_mov_b32 s12, 0xbe11bafb
	v_pk_mul_f32 v[72:73], v[28:29], s[16:17] op_sel_hi:[1,0]
	v_mov_b32_e32 v6, v4
	v_mov_b32_e32 v7, v3
	v_pk_fma_f32 v[10:11], v[26:27], s[14:15], v[8:9] op_sel:[0,0,1] op_sel_hi:[1,0,0]
	v_pk_fma_f32 v[8:9], v[26:27], s[14:15], v[8:9] op_sel:[0,0,1] op_sel_hi:[1,0,0] neg_lo:[0,0,1] neg_hi:[0,0,1]
	v_pk_fma_f32 v[74:75], v[30:31], s[12:13], v[72:73] op_sel:[0,0,1] op_sel_hi:[1,0,0]
	v_pk_fma_f32 v[72:73], v[30:31], s[12:13], v[72:73] op_sel:[0,0,1] op_sel_hi:[1,0,0] neg_lo:[0,0,1] neg_hi:[0,0,1]
	v_pk_add_f32 v[6:7], v[20:21], v[6:7]
	v_mov_b32_e32 v12, v10
	v_mov_b32_e32 v13, v9
	s_mov_b32 s26, 0x3e903f40
	v_mov_b32_e32 v76, v74
	v_mov_b32_e32 v77, v73
	v_pk_add_f32 v[6:7], v[12:13], v[6:7]
	v_pk_mul_f32 v[12:13], v[28:29], s[26:27] op_sel_hi:[1,0]
	v_pk_add_f32 v[66:67], v[76:77], v[66:67]
	v_pk_mul_f32 v[76:77], v[32:33], s[20:21] op_sel_hi:[1,0]
	v_pk_fma_f32 v[14:15], v[30:31], s[22:23], v[12:13] op_sel:[0,0,1] op_sel_hi:[1,0,0]
	v_pk_fma_f32 v[12:13], v[30:31], s[22:23], v[12:13] op_sel:[0,0,1] op_sel_hi:[1,0,0] neg_lo:[0,0,1] neg_hi:[0,0,1]
	v_pk_fma_f32 v[78:79], v[34:35], s[14:15], v[76:77] op_sel:[0,0,1] op_sel_hi:[1,0,0]
	v_pk_fma_f32 v[76:77], v[34:35], s[14:15], v[76:77] op_sel:[0,0,1] op_sel_hi:[1,0,0] neg_lo:[0,0,1] neg_hi:[0,0,1]
	v_mov_b32_e32 v16, v14
	v_mov_b32_e32 v17, v13
	s_mov_b32 s28, 0x3f7d64f0
	v_mov_b32_e32 v80, v78
	v_mov_b32_e32 v81, v77
	v_pk_add_f32 v[6:7], v[16:17], v[6:7]
	v_pk_mul_f32 v[16:17], v[32:33], s[28:29] op_sel_hi:[1,0]
	v_pk_add_f32 v[66:67], v[80:81], v[66:67]
	v_pk_mul_f32 v[80:81], v[36:37], s[24:25] op_sel_hi:[1,0]
	v_pk_fma_f32 v[18:19], v[34:35], s[12:13], v[16:17] op_sel:[0,0,1] op_sel_hi:[1,0,0]
	v_pk_fma_f32 v[16:17], v[34:35], s[12:13], v[16:17] op_sel:[0,0,1] op_sel_hi:[1,0,0] neg_lo:[0,0,1] neg_hi:[0,0,1]
	v_pk_fma_f32 v[82:83], v[38:39], s[22:23], v[80:81] op_sel:[0,0,1] op_sel_hi:[1,0,0]
	v_pk_fma_f32 v[80:81], v[38:39], s[22:23], v[80:81] op_sel:[0,0,1] op_sel_hi:[1,0,0] neg_lo:[0,0,1] neg_hi:[0,0,1]
	v_mov_b32_e32 v84, v18
	v_mov_b32_e32 v85, v17
	s_mov_b32 s30, 0x3f0a6770
	v_mov_b32_e32 v86, v82
	v_mov_b32_e32 v87, v81
	v_pk_add_f32 v[6:7], v[84:85], v[6:7]
	v_pk_mul_f32 v[84:85], v[36:37], s[30:31] op_sel_hi:[1,0]
	v_pk_add_f32 v[66:67], v[86:87], v[66:67]
	v_pk_fma_f32 v[86:87], v[38:39], s[8:9], v[84:85] op_sel:[0,0,1] op_sel_hi:[1,0,0]
	v_pk_fma_f32 v[84:85], v[38:39], s[8:9], v[84:85] op_sel:[0,0,1] op_sel_hi:[1,0,0] neg_lo:[0,0,1] neg_hi:[0,0,1]
	v_mov_b32_e32 v88, v86
	v_mov_b32_e32 v89, v85
	v_lshl_add_u32 v131, v47, 3, v131
	v_pk_add_f32 v[6:7], v[88:89], v[6:7]
	ds_write2_b64 v131, v[66:67], v[6:7] offset0:20 offset1:40
	v_pk_mul_f32 v[6:7], v[0:1], s[16:17] op_sel_hi:[1,0]
	v_pk_mul_f32 v[66:67], v[24:25], s[26:27] op_sel_hi:[1,0]
	v_pk_fma_f32 v[94:95], v[22:23], s[12:13], v[6:7] op_sel:[0,0,1] op_sel_hi:[1,0,0]
	v_pk_fma_f32 v[6:7], v[22:23], s[12:13], v[6:7] op_sel:[0,0,1] op_sel_hi:[1,0,0] neg_lo:[0,0,1] neg_hi:[0,0,1]
	s_mov_b32 s26, 0x3f68dda4
	v_mov_b32_e32 v96, v94
	v_mov_b32_e32 v97, v7
	v_pk_fma_f32 v[98:99], v[26:27], s[22:23], v[66:67] op_sel:[0,0,1] op_sel_hi:[1,0,0]
	v_pk_fma_f32 v[66:67], v[26:27], s[22:23], v[66:67] op_sel:[0,0,1] op_sel_hi:[1,0,0] neg_lo:[0,0,1] neg_hi:[0,0,1]
	v_pk_mul_f32 v[88:89], v[28:29], s[26:27] op_sel_hi:[1,0]
	v_pk_add_f32 v[96:97], v[20:21], v[96:97]
	v_mov_b32_e32 v100, v98
	v_mov_b32_e32 v101, v67
	v_pk_add_f32 v[96:97], v[100:101], v[96:97]
	v_pk_fma_f32 v[100:101], v[30:31], s[10:11], v[88:89] op_sel:[0,0,1] op_sel_hi:[1,0,0]
	v_pk_fma_f32 v[88:89], v[30:31], s[10:11], v[88:89] op_sel:[0,0,1] op_sel_hi:[1,0,0] neg_lo:[0,0,1] neg_hi:[0,0,1]
	v_pk_mul_f32 v[90:91], v[32:33], s[18:19] op_sel_hi:[1,0]
	v_mov_b32_e32 v102, v100
	v_mov_b32_e32 v103, v89
	v_pk_add_f32 v[96:97], v[102:103], v[96:97]
	v_pk_fma_f32 v[102:103], v[34:35], s[8:9], v[90:91] op_sel:[0,0,1] op_sel_hi:[1,0,0]
	v_pk_fma_f32 v[90:91], v[34:35], s[8:9], v[90:91] op_sel:[0,0,1] op_sel_hi:[1,0,0] neg_lo:[0,0,1] neg_hi:[0,0,1]
	v_pk_mul_f32 v[92:93], v[36:37], s[20:21] op_sel_hi:[1,0]
	v_mov_b32_e32 v104, v102
	v_mov_b32_e32 v105, v91
	v_pk_add_f32 v[96:97], v[104:105], v[96:97]
	v_pk_fma_f32 v[104:105], v[38:39], s[14:15], v[92:93] op_sel:[0,0,1] op_sel_hi:[1,0,0]
	v_pk_fma_f32 v[92:93], v[38:39], s[14:15], v[92:93] op_sel:[0,0,1] op_sel_hi:[1,0,0] neg_lo:[0,0,1] neg_hi:[0,0,1]
	v_mov_b32_e32 v106, v104
	v_mov_b32_e32 v107, v93
	v_pk_add_f32 v[96:97], v[106:107], v[96:97]
	v_pk_mul_f32 v[106:107], v[0:1], s[20:21] op_sel_hi:[1,0]
	v_pk_mul_f32 v[112:113], v[24:25], s[28:29] op_sel_hi:[1,0]
	v_pk_fma_f32 v[108:109], v[22:23], s[14:15], v[106:107] op_sel:[0,0,1] op_sel_hi:[1,0,0]
	v_pk_fma_f32 v[106:107], v[22:23], s[14:15], v[106:107] op_sel:[0,0,1] op_sel_hi:[1,0,0] neg_lo:[0,0,1] neg_hi:[0,0,1]
	v_mov_b32_e32 v110, v108
	v_mov_b32_e32 v111, v107
	v_pk_fma_f32 v[114:115], v[26:27], s[12:13], v[112:113] op_sel:[0,0,1] op_sel_hi:[1,0,0]
	v_pk_fma_f32 v[112:113], v[26:27], s[12:13], v[112:113] op_sel:[0,0,1] op_sel_hi:[1,0,0] neg_lo:[0,0,1] neg_hi:[0,0,1]
	v_pk_add_f32 v[110:111], v[20:21], v[110:111]
	v_mov_b32_e32 v116, v114
	v_mov_b32_e32 v117, v113
	v_pk_add_f32 v[110:111], v[116:117], v[110:111]
	v_pk_mul_f32 v[116:117], v[28:29], s[18:19] op_sel_hi:[1,0]
	v_pk_mul_f32 v[0:1], v[0:1], s[24:25] op_sel_hi:[1,0]
	v_pk_fma_f32 v[118:119], v[30:31], s[8:9], v[116:117] op_sel:[0,0,1] op_sel_hi:[1,0,0]
	v_pk_fma_f32 v[116:117], v[30:31], s[8:9], v[116:117] op_sel:[0,0,1] op_sel_hi:[1,0,0] neg_lo:[0,0,1] neg_hi:[0,0,1]
	v_mov_b32_e32 v120, v118
	v_mov_b32_e32 v121, v117
	v_pk_add_f32 v[110:111], v[120:121], v[110:111]
	v_pk_mul_f32 v[120:121], v[32:33], s[24:25] op_sel_hi:[1,0]
	v_pk_mul_f32 v[24:25], v[24:25], s[30:31] op_sel_hi:[1,0]
	v_pk_fma_f32 v[122:123], v[34:35], s[22:23], v[120:121] op_sel:[0,0,1] op_sel_hi:[1,0,0]
	v_pk_fma_f32 v[120:121], v[34:35], s[22:23], v[120:121] op_sel:[0,0,1] op_sel_hi:[1,0,0] neg_lo:[0,0,1] neg_hi:[0,0,1]
	;; [unrolled: 7-line block ×3, first 2 shown]
	v_mov_b32_e32 v128, v126
	v_mov_b32_e32 v129, v125
	v_pk_add_f32 v[110:111], v[128:129], v[110:111]
	ds_write2_b64 v131, v[96:97], v[110:111] offset0:60 offset1:80
	v_pk_fma_f32 v[96:97], v[22:23], s[22:23], v[0:1] op_sel:[0,0,1] op_sel_hi:[1,0,0]
	v_pk_fma_f32 v[0:1], v[22:23], s[22:23], v[0:1] op_sel:[0,0,1] op_sel_hi:[1,0,0] neg_lo:[0,0,1] neg_hi:[0,0,1]
	v_mov_b32_e32 v22, v96
	v_mov_b32_e32 v23, v1
	v_pk_fma_f32 v[110:111], v[26:27], s[8:9], v[24:25] op_sel:[0,0,1] op_sel_hi:[1,0,0]
	v_pk_fma_f32 v[24:25], v[26:27], s[8:9], v[24:25] op_sel:[0,0,1] op_sel_hi:[1,0,0] neg_lo:[0,0,1] neg_hi:[0,0,1]
	v_pk_add_f32 v[22:23], v[20:21], v[22:23]
	v_mov_b32_e32 v26, v110
	v_mov_b32_e32 v27, v25
	v_pk_add_f32 v[22:23], v[26:27], v[22:23]
	v_pk_fma_f32 v[26:27], v[30:31], s[14:15], v[28:29] op_sel:[0,0,1] op_sel_hi:[1,0,0]
	v_pk_fma_f32 v[28:29], v[30:31], s[14:15], v[28:29] op_sel:[0,0,1] op_sel_hi:[1,0,0] neg_lo:[0,0,1] neg_hi:[0,0,1]
	v_pk_mul_f32 v[32:33], v[32:33], s[26:27] op_sel_hi:[1,0]
	v_mov_b32_e32 v30, v26
	v_mov_b32_e32 v31, v29
	;; [unrolled: 1-line block ×3, first 2 shown]
	v_pk_add_f32 v[22:23], v[30:31], v[22:23]
	v_pk_fma_f32 v[30:31], v[34:35], s[10:11], v[32:33] op_sel:[0,0,1] op_sel_hi:[1,0,0]
	v_pk_fma_f32 v[32:33], v[34:35], s[10:11], v[32:33] op_sel:[0,0,1] op_sel_hi:[1,0,0] neg_lo:[0,0,1] neg_hi:[0,0,1]
	v_pk_add_f32 v[0:1], v[20:21], v[0:1]
	v_mov_b32_e32 v25, v111
	v_pk_mul_f32 v[36:37], v[36:37], s[16:17] op_sel_hi:[1,0]
	v_mov_b32_e32 v34, v30
	v_mov_b32_e32 v35, v33
	v_pk_add_f32 v[0:1], v[24:25], v[0:1]
	v_mov_b32_e32 v29, v27
	v_pk_add_f32 v[22:23], v[34:35], v[22:23]
	v_pk_fma_f32 v[34:35], v[38:39], s[12:13], v[36:37] op_sel:[0,0,1] op_sel_hi:[1,0,0]
	v_pk_fma_f32 v[36:37], v[38:39], s[12:13], v[36:37] op_sel:[0,0,1] op_sel_hi:[1,0,0] neg_lo:[0,0,1] neg_hi:[0,0,1]
	v_pk_add_f32 v[0:1], v[28:29], v[0:1]
	v_mov_b32_e32 v33, v31
	v_mov_b32_e32 v38, v34
	;; [unrolled: 1-line block ×3, first 2 shown]
	v_pk_add_f32 v[0:1], v[32:33], v[0:1]
	v_mov_b32_e32 v37, v35
	v_pk_add_f32 v[22:23], v[38:39], v[22:23]
	v_pk_add_f32 v[0:1], v[36:37], v[0:1]
	v_mov_b32_e32 v107, v109
	v_mov_b32_e32 v7, v95
	ds_write2_b64 v131, v[22:23], v[0:1] offset0:100 offset1:120
	v_pk_add_f32 v[0:1], v[20:21], v[106:107]
	v_mov_b32_e32 v113, v115
	v_pk_add_f32 v[6:7], v[20:21], v[6:7]
	v_mov_b32_e32 v67, v99
	v_pk_add_f32 v[0:1], v[112:113], v[0:1]
	v_mov_b32_e32 v117, v119
	v_pk_add_f32 v[6:7], v[66:67], v[6:7]
	v_mov_b32_e32 v89, v101
	v_pk_add_f32 v[0:1], v[116:117], v[0:1]
	v_mov_b32_e32 v121, v123
	v_pk_add_f32 v[6:7], v[88:89], v[6:7]
	v_mov_b32_e32 v91, v103
	v_pk_add_f32 v[0:1], v[120:121], v[0:1]
	v_mov_b32_e32 v125, v127
	v_pk_add_f32 v[6:7], v[90:91], v[6:7]
	v_mov_b32_e32 v93, v105
	v_pk_add_f32 v[0:1], v[124:125], v[0:1]
	v_pk_add_f32 v[6:7], v[92:93], v[6:7]
	v_mov_b32_e32 v3, v5
	v_mov_b32_e32 v63, v65
	ds_write2_b64 v131, v[0:1], v[6:7] offset0:140 offset1:160
	v_pk_add_f32 v[0:1], v[20:21], v[2:3]
	v_mov_b32_e32 v9, v11
	v_pk_add_f32 v[2:3], v[20:21], v[62:63]
	v_mov_b32_e32 v69, v71
	;; [unrolled: 2-line block ×8, first 2 shown]
	v_pk_add_f32 v[0:1], v[84:85], v[0:1]
	v_pk_add_f32 v[2:3], v[80:81], v[2:3]
	ds_write2_b64 v131, v[0:1], v[2:3] offset0:180 offset1:200
.LBB0_9:
	s_or_b64 exec, exec, s[2:3]
	s_waitcnt lgkmcnt(0)
	s_barrier
	ds_read2_b64 v[0:3], v130 offset1:22
	v_mov_b32_e32 v4, s0
	v_mov_b32_e32 v5, s1
	v_mad_u64_u32 v[6:7], s[0:1], s6, v46, 0
	v_mov_b32_e32 v8, v7
	v_mad_u64_u32 v[8:9], s[0:1], s7, v46, v[8:9]
	v_mov_b32_e32 v7, v8
	s_waitcnt lgkmcnt(0)
	v_mul_f32_e32 v8, v61, v1
	v_fmac_f32_e32 v8, v60, v0
	v_mul_f32_e32 v0, v61, v0
	s_mov_b32 s0, 0x29e4129e
	v_fma_f32 v0, v60, v1, -v0
	v_cvt_f64_f32_e32 v[8:9], v8
	s_mov_b32 s1, 0x3f729e41
	v_cvt_f64_f32_e32 v[0:1], v0
	v_mul_f64 v[8:9], v[8:9], s[0:1]
	v_mul_f64 v[0:1], v[0:1], s[0:1]
	v_cvt_f32_f64_e32 v8, v[8:9]
	v_cvt_f32_f64_e32 v9, v[0:1]
	v_mad_u64_u32 v[0:1], s[2:3], s4, v47, 0
	v_mov_b32_e32 v10, v1
	v_mad_u64_u32 v[10:11], s[2:3], s5, v47, v[10:11]
	v_mov_b32_e32 v1, v10
	v_lshl_add_u64 v[4:5], v[6:7], 3, v[4:5]
	v_lshl_add_u64 v[4:5], v[0:1], 3, v[4:5]
	v_mul_f32_e32 v0, v59, v3
	v_fmac_f32_e32 v0, v58, v2
	v_cvt_f64_f32_e32 v[0:1], v0
	v_mul_f64 v[0:1], v[0:1], s[0:1]
	v_cvt_f32_f64_e32 v6, v[0:1]
	v_mul_f32_e32 v0, v59, v2
	v_fma_f32 v0, v58, v3, -v0
	v_cvt_f64_f32_e32 v[0:1], v0
	v_mul_f64 v[0:1], v[0:1], s[0:1]
	v_cvt_f32_f64_e32 v7, v[0:1]
	ds_read2_b64 v[0:3], v130 offset0:44 offset1:66
	global_store_dwordx2 v[4:5], v[8:9], off
	v_mov_b32_e32 v8, 0xb0
	v_mad_u64_u32 v[4:5], s[2:3], s4, v8, v[4:5]
	s_mulk_i32 s5, 0xb0
	v_add_u32_e32 v5, s5, v5
	global_store_dwordx2 v[4:5], v[6:7], off
	s_waitcnt lgkmcnt(0)
	v_mul_f32_e32 v6, v57, v1
	v_fmac_f32_e32 v6, v56, v0
	v_mul_f32_e32 v0, v57, v0
	v_fma_f32 v0, v56, v1, -v0
	v_cvt_f64_f32_e32 v[6:7], v6
	v_cvt_f64_f32_e32 v[0:1], v0
	v_mul_f64 v[6:7], v[6:7], s[0:1]
	v_mul_f64 v[0:1], v[0:1], s[0:1]
	v_cvt_f32_f64_e32 v6, v[6:7]
	v_cvt_f32_f64_e32 v7, v[0:1]
	v_mul_f32_e32 v0, v51, v3
	v_fmac_f32_e32 v0, v50, v2
	v_mad_u64_u32 v[4:5], s[2:3], s4, v8, v[4:5]
	v_cvt_f64_f32_e32 v[0:1], v0
	v_add_u32_e32 v5, s5, v5
	v_mul_f64 v[0:1], v[0:1], s[0:1]
	global_store_dwordx2 v[4:5], v[6:7], off
	v_cvt_f32_f64_e32 v6, v[0:1]
	v_mul_f32_e32 v0, v51, v2
	v_fma_f32 v0, v50, v3, -v0
	v_cvt_f64_f32_e32 v[0:1], v0
	v_mul_f64 v[0:1], v[0:1], s[0:1]
	v_cvt_f32_f64_e32 v7, v[0:1]
	ds_read2_b64 v[0:3], v130 offset0:88 offset1:110
	v_mad_u64_u32 v[4:5], s[2:3], s4, v8, v[4:5]
	v_add_u32_e32 v5, s5, v5
	global_store_dwordx2 v[4:5], v[6:7], off
	s_waitcnt lgkmcnt(0)
	v_mul_f32_e32 v6, v55, v1
	v_fmac_f32_e32 v6, v54, v0
	v_mul_f32_e32 v0, v55, v0
	v_fma_f32 v0, v54, v1, -v0
	v_cvt_f64_f32_e32 v[6:7], v6
	v_cvt_f64_f32_e32 v[0:1], v0
	v_mul_f64 v[6:7], v[6:7], s[0:1]
	v_mul_f64 v[0:1], v[0:1], s[0:1]
	v_cvt_f32_f64_e32 v6, v[6:7]
	v_cvt_f32_f64_e32 v7, v[0:1]
	v_mul_f32_e32 v0, v53, v3
	v_fmac_f32_e32 v0, v52, v2
	v_mad_u64_u32 v[4:5], s[2:3], s4, v8, v[4:5]
	v_cvt_f64_f32_e32 v[0:1], v0
	v_add_u32_e32 v5, s5, v5
	v_mul_f64 v[0:1], v[0:1], s[0:1]
	global_store_dwordx2 v[4:5], v[6:7], off
	v_cvt_f32_f64_e32 v6, v[0:1]
	v_mul_f32_e32 v0, v53, v2
	v_fma_f32 v0, v52, v3, -v0
	v_cvt_f64_f32_e32 v[0:1], v0
	v_mul_f64 v[0:1], v[0:1], s[0:1]
	v_cvt_f32_f64_e32 v7, v[0:1]
	ds_read2_b64 v[0:3], v130 offset0:132 offset1:154
	v_mad_u64_u32 v[4:5], s[2:3], s4, v8, v[4:5]
	;; [unrolled: 28-line block ×3, first 2 shown]
	v_add_u32_e32 v5, s5, v5
	global_store_dwordx2 v[4:5], v[6:7], off
	s_waitcnt lgkmcnt(0)
	v_mul_f32_e32 v6, v43, v1
	v_fmac_f32_e32 v6, v42, v0
	v_mul_f32_e32 v0, v43, v0
	v_fma_f32 v0, v42, v1, -v0
	v_cvt_f64_f32_e32 v[6:7], v6
	v_cvt_f64_f32_e32 v[0:1], v0
	v_mul_f64 v[6:7], v[6:7], s[0:1]
	v_mul_f64 v[0:1], v[0:1], s[0:1]
	v_cvt_f32_f64_e32 v6, v[6:7]
	v_cvt_f32_f64_e32 v7, v[0:1]
	v_mad_u64_u32 v[0:1], s[2:3], s4, v8, v[4:5]
	v_mul_f32_e32 v4, v41, v3
	v_fmac_f32_e32 v4, v40, v2
	v_mul_f32_e32 v2, v41, v2
	v_fma_f32 v2, v40, v3, -v2
	v_add_u32_e32 v1, s5, v1
	v_cvt_f64_f32_e32 v[4:5], v4
	v_cvt_f64_f32_e32 v[2:3], v2
	global_store_dwordx2 v[0:1], v[6:7], off
	v_mul_f64 v[4:5], v[4:5], s[0:1]
	v_mul_f64 v[2:3], v[2:3], s[0:1]
	v_mad_u64_u32 v[0:1], s[0:1], s4, v8, v[0:1]
	v_cvt_f32_f64_e32 v4, v[4:5]
	v_cvt_f32_f64_e32 v5, v[2:3]
	v_add_u32_e32 v1, s5, v1
	global_store_dwordx2 v[0:1], v[4:5], off
.LBB0_10:
	s_endpgm
	.section	.rodata,"a",@progbits
	.p2align	6, 0x0
	.amdhsa_kernel bluestein_single_back_len220_dim1_sp_op_CI_CI
		.amdhsa_group_segment_fixed_size 8800
		.amdhsa_private_segment_fixed_size 0
		.amdhsa_kernarg_size 104
		.amdhsa_user_sgpr_count 2
		.amdhsa_user_sgpr_dispatch_ptr 0
		.amdhsa_user_sgpr_queue_ptr 0
		.amdhsa_user_sgpr_kernarg_segment_ptr 1
		.amdhsa_user_sgpr_dispatch_id 0
		.amdhsa_user_sgpr_kernarg_preload_length 0
		.amdhsa_user_sgpr_kernarg_preload_offset 0
		.amdhsa_user_sgpr_private_segment_size 0
		.amdhsa_uses_dynamic_stack 0
		.amdhsa_enable_private_segment 0
		.amdhsa_system_sgpr_workgroup_id_x 1
		.amdhsa_system_sgpr_workgroup_id_y 0
		.amdhsa_system_sgpr_workgroup_id_z 0
		.amdhsa_system_sgpr_workgroup_info 0
		.amdhsa_system_vgpr_workitem_id 0
		.amdhsa_next_free_vgpr 164
		.amdhsa_next_free_sgpr 36
		.amdhsa_accum_offset 164
		.amdhsa_reserve_vcc 1
		.amdhsa_float_round_mode_32 0
		.amdhsa_float_round_mode_16_64 0
		.amdhsa_float_denorm_mode_32 3
		.amdhsa_float_denorm_mode_16_64 3
		.amdhsa_dx10_clamp 1
		.amdhsa_ieee_mode 1
		.amdhsa_fp16_overflow 0
		.amdhsa_tg_split 0
		.amdhsa_exception_fp_ieee_invalid_op 0
		.amdhsa_exception_fp_denorm_src 0
		.amdhsa_exception_fp_ieee_div_zero 0
		.amdhsa_exception_fp_ieee_overflow 0
		.amdhsa_exception_fp_ieee_underflow 0
		.amdhsa_exception_fp_ieee_inexact 0
		.amdhsa_exception_int_div_zero 0
	.end_amdhsa_kernel
	.text
.Lfunc_end0:
	.size	bluestein_single_back_len220_dim1_sp_op_CI_CI, .Lfunc_end0-bluestein_single_back_len220_dim1_sp_op_CI_CI
                                        ; -- End function
	.section	.AMDGPU.csdata,"",@progbits
; Kernel info:
; codeLenInByte = 9152
; NumSgprs: 42
; NumVgprs: 164
; NumAgprs: 0
; TotalNumVgprs: 164
; ScratchSize: 0
; MemoryBound: 0
; FloatMode: 240
; IeeeMode: 1
; LDSByteSize: 8800 bytes/workgroup (compile time only)
; SGPRBlocks: 5
; VGPRBlocks: 20
; NumSGPRsForWavesPerEU: 42
; NumVGPRsForWavesPerEU: 164
; AccumOffset: 164
; Occupancy: 3
; WaveLimiterHint : 1
; COMPUTE_PGM_RSRC2:SCRATCH_EN: 0
; COMPUTE_PGM_RSRC2:USER_SGPR: 2
; COMPUTE_PGM_RSRC2:TRAP_HANDLER: 0
; COMPUTE_PGM_RSRC2:TGID_X_EN: 1
; COMPUTE_PGM_RSRC2:TGID_Y_EN: 0
; COMPUTE_PGM_RSRC2:TGID_Z_EN: 0
; COMPUTE_PGM_RSRC2:TIDIG_COMP_CNT: 0
; COMPUTE_PGM_RSRC3_GFX90A:ACCUM_OFFSET: 40
; COMPUTE_PGM_RSRC3_GFX90A:TG_SPLIT: 0
	.text
	.p2alignl 6, 3212836864
	.fill 256, 4, 3212836864
	.type	__hip_cuid_e93c998b30e18766,@object ; @__hip_cuid_e93c998b30e18766
	.section	.bss,"aw",@nobits
	.globl	__hip_cuid_e93c998b30e18766
__hip_cuid_e93c998b30e18766:
	.byte	0                               ; 0x0
	.size	__hip_cuid_e93c998b30e18766, 1

	.ident	"AMD clang version 19.0.0git (https://github.com/RadeonOpenCompute/llvm-project roc-6.4.0 25133 c7fe45cf4b819c5991fe208aaa96edf142730f1d)"
	.section	".note.GNU-stack","",@progbits
	.addrsig
	.addrsig_sym __hip_cuid_e93c998b30e18766
	.amdgpu_metadata
---
amdhsa.kernels:
  - .agpr_count:     0
    .args:
      - .actual_access:  read_only
        .address_space:  global
        .offset:         0
        .size:           8
        .value_kind:     global_buffer
      - .actual_access:  read_only
        .address_space:  global
        .offset:         8
        .size:           8
        .value_kind:     global_buffer
      - .actual_access:  read_only
        .address_space:  global
        .offset:         16
        .size:           8
        .value_kind:     global_buffer
      - .actual_access:  read_only
        .address_space:  global
        .offset:         24
        .size:           8
        .value_kind:     global_buffer
      - .actual_access:  read_only
        .address_space:  global
        .offset:         32
        .size:           8
        .value_kind:     global_buffer
      - .offset:         40
        .size:           8
        .value_kind:     by_value
      - .address_space:  global
        .offset:         48
        .size:           8
        .value_kind:     global_buffer
      - .address_space:  global
        .offset:         56
        .size:           8
        .value_kind:     global_buffer
      - .address_space:  global
        .offset:         64
        .size:           8
        .value_kind:     global_buffer
      - .address_space:  global
        .offset:         72
        .size:           8
        .value_kind:     global_buffer
      - .offset:         80
        .size:           4
        .value_kind:     by_value
      - .address_space:  global
        .offset:         88
        .size:           8
        .value_kind:     global_buffer
      - .address_space:  global
        .offset:         96
        .size:           8
        .value_kind:     global_buffer
    .group_segment_fixed_size: 8800
    .kernarg_segment_align: 8
    .kernarg_segment_size: 104
    .language:       OpenCL C
    .language_version:
      - 2
      - 0
    .max_flat_workgroup_size: 110
    .name:           bluestein_single_back_len220_dim1_sp_op_CI_CI
    .private_segment_fixed_size: 0
    .sgpr_count:     42
    .sgpr_spill_count: 0
    .symbol:         bluestein_single_back_len220_dim1_sp_op_CI_CI.kd
    .uniform_work_group_size: 1
    .uses_dynamic_stack: false
    .vgpr_count:     164
    .vgpr_spill_count: 0
    .wavefront_size: 64
amdhsa.target:   amdgcn-amd-amdhsa--gfx950
amdhsa.version:
  - 1
  - 2
...

	.end_amdgpu_metadata
